;; amdgpu-corpus repo=ROCm/rocFFT kind=compiled arch=gfx906 opt=O3
	.text
	.amdgcn_target "amdgcn-amd-amdhsa--gfx906"
	.amdhsa_code_object_version 6
	.protected	fft_rtc_back_len1683_factors_17_3_11_3_wgs_51_tpt_51_halfLds_sp_op_CI_CI_unitstride_sbrr_dirReg ; -- Begin function fft_rtc_back_len1683_factors_17_3_11_3_wgs_51_tpt_51_halfLds_sp_op_CI_CI_unitstride_sbrr_dirReg
	.globl	fft_rtc_back_len1683_factors_17_3_11_3_wgs_51_tpt_51_halfLds_sp_op_CI_CI_unitstride_sbrr_dirReg
	.p2align	8
	.type	fft_rtc_back_len1683_factors_17_3_11_3_wgs_51_tpt_51_halfLds_sp_op_CI_CI_unitstride_sbrr_dirReg,@function
fft_rtc_back_len1683_factors_17_3_11_3_wgs_51_tpt_51_halfLds_sp_op_CI_CI_unitstride_sbrr_dirReg: ; @fft_rtc_back_len1683_factors_17_3_11_3_wgs_51_tpt_51_halfLds_sp_op_CI_CI_unitstride_sbrr_dirReg
; %bb.0:
	s_load_dwordx4 s[8:11], s[4:5], 0x58
	s_load_dwordx4 s[12:15], s[4:5], 0x0
	;; [unrolled: 1-line block ×3, first 2 shown]
	v_mul_u32_u24_e32 v1, 0x506, v0
	v_mov_b32_e32 v5, 0
	v_mov_b32_e32 v75, 0
	s_waitcnt lgkmcnt(0)
	v_cmp_lt_u64_e64 s[0:1], s[14:15], 2
	v_add_u32_sdwa v7, s6, v1 dst_sel:DWORD dst_unused:UNUSED_PAD src0_sel:DWORD src1_sel:WORD_1
	v_mov_b32_e32 v8, v5
	s_and_b64 vcc, exec, s[0:1]
	v_mov_b32_e32 v76, 0
	s_cbranch_vccnz .LBB0_8
; %bb.1:
	s_load_dwordx2 s[0:1], s[4:5], 0x10
	s_add_u32 s2, s18, 8
	s_addc_u32 s3, s19, 0
	s_add_u32 s6, s16, 8
	s_addc_u32 s7, s17, 0
	v_mov_b32_e32 v75, 0
	s_waitcnt lgkmcnt(0)
	s_add_u32 s20, s0, 8
	v_mov_b32_e32 v76, 0
	v_mov_b32_e32 v1, v75
	s_addc_u32 s21, s1, 0
	s_mov_b64 s[22:23], 1
	v_mov_b32_e32 v2, v76
.LBB0_2:                                ; =>This Inner Loop Header: Depth=1
	s_load_dwordx2 s[24:25], s[20:21], 0x0
                                        ; implicit-def: $vgpr3_vgpr4
	s_waitcnt lgkmcnt(0)
	v_or_b32_e32 v6, s25, v8
	v_cmp_ne_u64_e32 vcc, 0, v[5:6]
	s_and_saveexec_b64 s[0:1], vcc
	s_xor_b64 s[26:27], exec, s[0:1]
	s_cbranch_execz .LBB0_4
; %bb.3:                                ;   in Loop: Header=BB0_2 Depth=1
	v_cvt_f32_u32_e32 v3, s24
	v_cvt_f32_u32_e32 v4, s25
	s_sub_u32 s0, 0, s24
	s_subb_u32 s1, 0, s25
	v_mac_f32_e32 v3, 0x4f800000, v4
	v_rcp_f32_e32 v3, v3
	v_mul_f32_e32 v3, 0x5f7ffffc, v3
	v_mul_f32_e32 v4, 0x2f800000, v3
	v_trunc_f32_e32 v4, v4
	v_mac_f32_e32 v3, 0xcf800000, v4
	v_cvt_u32_f32_e32 v4, v4
	v_cvt_u32_f32_e32 v3, v3
	v_mul_lo_u32 v6, s0, v4
	v_mul_hi_u32 v9, s0, v3
	v_mul_lo_u32 v11, s1, v3
	v_mul_lo_u32 v10, s0, v3
	v_add_u32_e32 v6, v9, v6
	v_add_u32_e32 v6, v6, v11
	v_mul_hi_u32 v9, v3, v10
	v_mul_lo_u32 v11, v3, v6
	v_mul_hi_u32 v13, v3, v6
	v_mul_hi_u32 v12, v4, v10
	v_mul_lo_u32 v10, v4, v10
	v_mul_hi_u32 v14, v4, v6
	v_add_co_u32_e32 v9, vcc, v9, v11
	v_addc_co_u32_e32 v11, vcc, 0, v13, vcc
	v_mul_lo_u32 v6, v4, v6
	v_add_co_u32_e32 v9, vcc, v9, v10
	v_addc_co_u32_e32 v9, vcc, v11, v12, vcc
	v_addc_co_u32_e32 v10, vcc, 0, v14, vcc
	v_add_co_u32_e32 v6, vcc, v9, v6
	v_addc_co_u32_e32 v9, vcc, 0, v10, vcc
	v_add_co_u32_e32 v3, vcc, v3, v6
	v_addc_co_u32_e32 v4, vcc, v4, v9, vcc
	v_mul_lo_u32 v6, s0, v4
	v_mul_hi_u32 v9, s0, v3
	v_mul_lo_u32 v10, s1, v3
	v_mul_lo_u32 v11, s0, v3
	v_add_u32_e32 v6, v9, v6
	v_add_u32_e32 v6, v6, v10
	v_mul_lo_u32 v12, v3, v6
	v_mul_hi_u32 v13, v3, v11
	v_mul_hi_u32 v14, v3, v6
	v_mul_hi_u32 v10, v4, v11
	v_mul_lo_u32 v11, v4, v11
	v_mul_hi_u32 v9, v4, v6
	v_add_co_u32_e32 v12, vcc, v13, v12
	v_addc_co_u32_e32 v13, vcc, 0, v14, vcc
	v_mul_lo_u32 v6, v4, v6
	v_add_co_u32_e32 v11, vcc, v12, v11
	v_addc_co_u32_e32 v10, vcc, v13, v10, vcc
	v_addc_co_u32_e32 v9, vcc, 0, v9, vcc
	v_add_co_u32_e32 v6, vcc, v10, v6
	v_addc_co_u32_e32 v9, vcc, 0, v9, vcc
	v_add_co_u32_e32 v6, vcc, v3, v6
	v_addc_co_u32_e32 v9, vcc, v4, v9, vcc
	v_mad_u64_u32 v[3:4], s[0:1], v7, v9, 0
	v_mul_hi_u32 v10, v7, v6
	v_add_co_u32_e32 v11, vcc, v10, v3
	v_addc_co_u32_e32 v12, vcc, 0, v4, vcc
	v_mad_u64_u32 v[3:4], s[0:1], v8, v6, 0
	v_mad_u64_u32 v[9:10], s[0:1], v8, v9, 0
	v_add_co_u32_e32 v3, vcc, v11, v3
	v_addc_co_u32_e32 v3, vcc, v12, v4, vcc
	v_addc_co_u32_e32 v4, vcc, 0, v10, vcc
	v_add_co_u32_e32 v6, vcc, v3, v9
	v_addc_co_u32_e32 v9, vcc, 0, v4, vcc
	v_mul_lo_u32 v10, s25, v6
	v_mul_lo_u32 v11, s24, v9
	v_mad_u64_u32 v[3:4], s[0:1], s24, v6, 0
	v_add3_u32 v4, v4, v11, v10
	v_sub_u32_e32 v10, v8, v4
	v_mov_b32_e32 v11, s25
	v_sub_co_u32_e32 v3, vcc, v7, v3
	v_subb_co_u32_e64 v10, s[0:1], v10, v11, vcc
	v_subrev_co_u32_e64 v11, s[0:1], s24, v3
	v_subbrev_co_u32_e64 v10, s[0:1], 0, v10, s[0:1]
	v_cmp_le_u32_e64 s[0:1], s25, v10
	v_cndmask_b32_e64 v12, 0, -1, s[0:1]
	v_cmp_le_u32_e64 s[0:1], s24, v11
	v_cndmask_b32_e64 v11, 0, -1, s[0:1]
	v_cmp_eq_u32_e64 s[0:1], s25, v10
	v_cndmask_b32_e64 v10, v12, v11, s[0:1]
	v_add_co_u32_e64 v11, s[0:1], 2, v6
	v_addc_co_u32_e64 v12, s[0:1], 0, v9, s[0:1]
	v_add_co_u32_e64 v13, s[0:1], 1, v6
	v_addc_co_u32_e64 v14, s[0:1], 0, v9, s[0:1]
	v_subb_co_u32_e32 v4, vcc, v8, v4, vcc
	v_cmp_ne_u32_e64 s[0:1], 0, v10
	v_cmp_le_u32_e32 vcc, s25, v4
	v_cndmask_b32_e64 v10, v14, v12, s[0:1]
	v_cndmask_b32_e64 v12, 0, -1, vcc
	v_cmp_le_u32_e32 vcc, s24, v3
	v_cndmask_b32_e64 v3, 0, -1, vcc
	v_cmp_eq_u32_e32 vcc, s25, v4
	v_cndmask_b32_e32 v3, v12, v3, vcc
	v_cmp_ne_u32_e32 vcc, 0, v3
	v_cndmask_b32_e64 v3, v13, v11, s[0:1]
	v_cndmask_b32_e32 v4, v9, v10, vcc
	v_cndmask_b32_e32 v3, v6, v3, vcc
.LBB0_4:                                ;   in Loop: Header=BB0_2 Depth=1
	s_andn2_saveexec_b64 s[0:1], s[26:27]
	s_cbranch_execz .LBB0_6
; %bb.5:                                ;   in Loop: Header=BB0_2 Depth=1
	v_cvt_f32_u32_e32 v3, s24
	s_sub_i32 s26, 0, s24
	v_rcp_iflag_f32_e32 v3, v3
	v_mul_f32_e32 v3, 0x4f7ffffe, v3
	v_cvt_u32_f32_e32 v3, v3
	v_mul_lo_u32 v4, s26, v3
	v_mul_hi_u32 v4, v3, v4
	v_add_u32_e32 v3, v3, v4
	v_mul_hi_u32 v3, v7, v3
	v_mul_lo_u32 v4, v3, s24
	v_add_u32_e32 v6, 1, v3
	v_sub_u32_e32 v4, v7, v4
	v_subrev_u32_e32 v9, s24, v4
	v_cmp_le_u32_e32 vcc, s24, v4
	v_cndmask_b32_e32 v4, v4, v9, vcc
	v_cndmask_b32_e32 v3, v3, v6, vcc
	v_add_u32_e32 v6, 1, v3
	v_cmp_le_u32_e32 vcc, s24, v4
	v_cndmask_b32_e32 v3, v3, v6, vcc
	v_mov_b32_e32 v4, v5
.LBB0_6:                                ;   in Loop: Header=BB0_2 Depth=1
	s_or_b64 exec, exec, s[0:1]
	v_mul_lo_u32 v6, v4, s24
	v_mul_lo_u32 v11, v3, s25
	v_mad_u64_u32 v[9:10], s[0:1], v3, s24, 0
	s_load_dwordx2 s[0:1], s[6:7], 0x0
	s_load_dwordx2 s[24:25], s[2:3], 0x0
	v_add3_u32 v6, v10, v11, v6
	v_sub_co_u32_e32 v7, vcc, v7, v9
	v_subb_co_u32_e32 v6, vcc, v8, v6, vcc
	s_waitcnt lgkmcnt(0)
	v_mul_lo_u32 v8, s0, v6
	v_mul_lo_u32 v9, s1, v7
	v_mad_u64_u32 v[75:76], s[0:1], s0, v7, v[75:76]
	v_mul_lo_u32 v6, s24, v6
	v_mul_lo_u32 v10, s25, v7
	v_mad_u64_u32 v[1:2], s[0:1], s24, v7, v[1:2]
	s_add_u32 s22, s22, 1
	s_addc_u32 s23, s23, 0
	s_add_u32 s2, s2, 8
	v_add3_u32 v2, v10, v2, v6
	s_addc_u32 s3, s3, 0
	v_mov_b32_e32 v6, s14
	s_add_u32 s6, s6, 8
	v_mov_b32_e32 v7, s15
	s_addc_u32 s7, s7, 0
	v_cmp_ge_u64_e32 vcc, s[22:23], v[6:7]
	s_add_u32 s20, s20, 8
	v_add3_u32 v76, v9, v76, v8
	s_addc_u32 s21, s21, 0
	s_cbranch_vccnz .LBB0_9
; %bb.7:                                ;   in Loop: Header=BB0_2 Depth=1
	v_mov_b32_e32 v8, v4
	v_mov_b32_e32 v7, v3
	s_branch .LBB0_2
.LBB0_8:
	v_mov_b32_e32 v1, v75
	v_mov_b32_e32 v3, v7
	;; [unrolled: 1-line block ×4, first 2 shown]
.LBB0_9:
	s_load_dwordx2 s[4:5], s[4:5], 0x28
	s_lshl_b64 s[6:7], s[14:15], 3
	s_add_u32 s2, s18, s6
	s_addc_u32 s3, s19, s7
                                        ; implicit-def: $sgpr14
                                        ; implicit-def: $vgpr79
	s_waitcnt lgkmcnt(0)
	v_cmp_gt_u64_e64 s[0:1], s[4:5], v[3:4]
	v_cmp_le_u64_e32 vcc, s[4:5], v[3:4]
	s_and_saveexec_b64 s[4:5], vcc
	s_xor_b64 s[4:5], exec, s[4:5]
; %bb.10:
	s_mov_b32 s14, 0x5050506
	v_mul_hi_u32 v5, v0, s14
	s_mov_b32 s14, 0
                                        ; implicit-def: $vgpr75_vgpr76
	v_mul_u32_u24_e32 v5, 51, v5
	v_sub_u32_e32 v79, v0, v5
                                        ; implicit-def: $vgpr0
; %bb.11:
	s_or_saveexec_b64 s[4:5], s[4:5]
	s_load_dwordx2 s[2:3], s[2:3], 0x0
	v_mov_b32_e32 v24, s14
	v_mov_b32_e32 v74, s14
                                        ; implicit-def: $vgpr62
                                        ; implicit-def: $vgpr66
                                        ; implicit-def: $vgpr64
                                        ; implicit-def: $vgpr58
                                        ; implicit-def: $vgpr54
                                        ; implicit-def: $vgpr50
                                        ; implicit-def: $vgpr46
                                        ; implicit-def: $vgpr40
                                        ; implicit-def: $vgpr38
                                        ; implicit-def: $vgpr52
                                        ; implicit-def: $vgpr56
                                        ; implicit-def: $vgpr60
                                        ; implicit-def: $vgpr68
                                        ; implicit-def: $vgpr70
                                        ; implicit-def: $vgpr72
                                        ; implicit-def: $vgpr36
                                        ; implicit-def: $vgpr32
                                        ; implicit-def: $vgpr28
                                        ; implicit-def: $vgpr22
                                        ; implicit-def: $vgpr20
                                        ; implicit-def: $vgpr14
                                        ; implicit-def: $vgpr12
                                        ; implicit-def: $vgpr6
                                        ; implicit-def: $vgpr8
                                        ; implicit-def: $vgpr10
                                        ; implicit-def: $vgpr42
                                        ; implicit-def: $vgpr34
                                        ; implicit-def: $vgpr30
                                        ; implicit-def: $vgpr26
                                        ; implicit-def: $vgpr18
                                        ; implicit-def: $vgpr16
                                        ; implicit-def: $vgpr48
                                        ; implicit-def: $vgpr44
	s_xor_b64 exec, exec, s[4:5]
	s_cbranch_execz .LBB0_15
; %bb.12:
	s_add_u32 s6, s16, s6
	s_addc_u32 s7, s17, s7
	s_load_dwordx2 s[6:7], s[6:7], 0x0
	s_mov_b32 s14, 0x5050506
	v_mul_hi_u32 v7, v0, s14
	v_mov_b32_e32 v74, 0
	v_mov_b32_e32 v24, 0
	s_waitcnt lgkmcnt(0)
	v_mul_lo_u32 v8, s7, v3
	v_mul_lo_u32 v9, s6, v4
	v_mad_u64_u32 v[5:6], s[6:7], s6, v3, 0
	v_mul_u32_u24_e32 v7, 51, v7
	v_sub_u32_e32 v79, v0, v7
	v_add3_u32 v6, v6, v9, v8
	v_lshlrev_b64 v[5:6], 3, v[5:6]
	v_mov_b32_e32 v0, s9
	v_add_co_u32_e32 v7, vcc, s8, v5
	v_addc_co_u32_e32 v8, vcc, v0, v6, vcc
	v_lshlrev_b64 v[5:6], 3, v[75:76]
	s_movk_i32 s6, 0x1000
	v_add_co_u32_e32 v0, vcc, v7, v5
	v_addc_co_u32_e32 v6, vcc, v8, v6, vcc
	v_lshlrev_b32_e32 v5, 3, v79
	v_add_co_u32_e32 v75, vcc, v0, v5
	v_addc_co_u32_e32 v76, vcc, 0, v6, vcc
	v_add_co_u32_e32 v7, vcc, s6, v75
	v_addc_co_u32_e32 v8, vcc, 0, v76, vcc
	s_movk_i32 s6, 0x2000
	v_add_co_u32_e32 v77, vcc, s6, v75
	global_load_dwordx2 v[61:62], v[75:76], off
	global_load_dwordx2 v[65:66], v[75:76], off offset:792
	global_load_dwordx2 v[63:64], v[75:76], off offset:1584
	;; [unrolled: 1-line block ×7, first 2 shown]
	v_addc_co_u32_e32 v78, vcc, 0, v76, vcc
	global_load_dwordx2 v[37:38], v[7:8], off offset:2240
	global_load_dwordx2 v[43:44], v[7:8], off offset:3032
	;; [unrolled: 1-line block ×8, first 2 shown]
	v_add_co_u32_e32 v7, vcc, 0x3000, v75
	v_addc_co_u32_e32 v8, vcc, 0, v76, vcc
	global_load_dwordx2 v[71:72], v[7:8], off offset:384
	v_cmp_gt_u32_e32 vcc, 48, v79
                                        ; implicit-def: $vgpr15
                                        ; implicit-def: $vgpr17
                                        ; implicit-def: $vgpr25
                                        ; implicit-def: $vgpr29
                                        ; implicit-def: $vgpr33
                                        ; implicit-def: $vgpr41
                                        ; implicit-def: $vgpr9
                                        ; implicit-def: $vgpr7
                                        ; implicit-def: $vgpr5
                                        ; implicit-def: $vgpr11
                                        ; implicit-def: $vgpr13
                                        ; implicit-def: $vgpr19
                                        ; implicit-def: $vgpr21
                                        ; implicit-def: $vgpr27
                                        ; implicit-def: $vgpr31
                                        ; implicit-def: $vgpr35
	s_and_saveexec_b64 s[6:7], vcc
	s_cbranch_execz .LBB0_14
; %bb.13:
	v_add_co_u32_e32 v41, vcc, 0x1000, v75
	v_addc_co_u32_e32 v42, vcc, 0, v76, vcc
	v_or_b32_e32 v73, 0x600, v79
	global_load_dwordx2 v[23:24], v[75:76], off offset:408
	global_load_dwordx2 v[35:36], v[75:76], off offset:1200
	;; [unrolled: 1-line block ×12, first 2 shown]
	v_lshlrev_b64 v[7:8], 3, v[73:74]
	v_add_co_u32_e32 v73, vcc, v0, v7
	v_addc_co_u32_e32 v74, vcc, v6, v8, vcc
	global_load_dwordx2 v[11:12], v[41:42], off offset:1856
	global_load_dwordx2 v[5:6], v[41:42], off offset:2648
	;; [unrolled: 1-line block ×3, first 2 shown]
	global_load_dwordx2 v[33:34], v[73:74], off
	v_add_co_u32_e32 v41, vcc, 0x3000, v75
	v_addc_co_u32_e32 v42, vcc, 0, v76, vcc
	global_load_dwordx2 v[41:42], v[41:42], off offset:792
	s_waitcnt vmcnt(16)
	v_mov_b32_e32 v74, v23
.LBB0_14:
	s_or_b64 exec, exec, s[6:7]
.LBB0_15:
	s_or_b64 exec, exec, s[4:5]
	s_waitcnt vmcnt(0)
	v_sub_f32_e32 v73, v66, v72
	v_mul_f32_e32 v75, 0xbeb8f4ab, v73
	v_mul_f32_e32 v77, 0xbf2c7751, v73
	;; [unrolled: 1-line block ×8, first 2 shown]
	v_add_f32_e32 v23, v65, v71
	s_mov_b32 s14, 0x3f6eb680
	v_mov_b32_e32 v76, v75
	s_mov_b32 s8, 0x3f3d2fb0
	v_mov_b32_e32 v78, v77
	;; [unrolled: 2-line block ×8, first 2 shown]
	v_fmac_f32_e32 v76, 0x3f6eb680, v23
	v_fma_f32 v75, v23, s14, -v75
	v_fmac_f32_e32 v78, 0x3f3d2fb0, v23
	v_fma_f32 v77, v23, s8, -v77
	;; [unrolled: 2-line block ×8, first 2 shown]
	v_sub_f32_e32 v73, v64, v70
	v_add_f32_e32 v0, v61, v65
	v_add_f32_e32 v76, v76, v61
	;; [unrolled: 1-line block ×18, first 2 shown]
	v_mul_f32_e32 v91, 0xbf2c7751, v73
	v_mov_b32_e32 v92, v91
	v_fma_f32 v91, v61, s8, -v91
	v_fmac_f32_e32 v92, 0x3f3d2fb0, v61
	v_add_f32_e32 v75, v91, v75
	v_mul_f32_e32 v91, 0xbf7ee86f, v73
	v_add_f32_e32 v76, v92, v76
	v_mov_b32_e32 v92, v91
	v_fma_f32 v91, v61, s6, -v91
	v_fmac_f32_e32 v92, 0x3dbcf732, v61
	v_add_f32_e32 v77, v91, v77
	v_mul_f32_e32 v91, 0xbf4c4adb, v73
	v_add_f32_e32 v78, v92, v78
	v_mov_b32_e32 v92, v91
	v_fma_f32 v91, v61, s15, -v91
	v_fmac_f32_e32 v92, 0xbf1a4643, v61
	v_add_f32_e32 v80, v91, v80
	v_mul_f32_e32 v91, 0xbe3c28d5, v73
	v_add_f32_e32 v81, v92, v81
	v_mov_b32_e32 v92, v91
	v_fma_f32 v91, v61, s17, -v91
	v_fmac_f32_e32 v92, 0xbf7ba420, v61
	v_add_f32_e32 v82, v91, v82
	v_mul_f32_e32 v91, 0x3f06c442, v73
	v_add_f32_e32 v83, v92, v83
	v_mov_b32_e32 v92, v91
	v_fma_f32 v91, v61, s16, -v91
	v_fmac_f32_e32 v92, 0xbf59a7d5, v61
	v_add_f32_e32 v84, v91, v84
	v_mul_f32_e32 v91, 0x3f763a35, v73
	v_add_f32_e32 v85, v92, v85
	v_mov_b32_e32 v92, v91
	v_fma_f32 v91, v61, s9, -v91
	v_fmac_f32_e32 v92, 0xbe8c1d8e, v61
	v_add_f32_e32 v86, v91, v86
	v_mul_f32_e32 v91, 0x3f65296c, v73
	v_add_f32_e32 v87, v92, v87
	v_mov_b32_e32 v92, v91
	v_fma_f32 v91, v61, s7, -v91
	v_mul_f32_e32 v73, 0x3eb8f4ab, v73
	v_add_f32_e32 v88, v91, v88
	v_mov_b32_e32 v91, v73
	v_fmac_f32_e32 v92, 0x3ee437d1, v61
	v_fmac_f32_e32 v91, 0x3f6eb680, v61
	v_fma_f32 v61, v61, s14, -v73
	v_sub_f32_e32 v73, v58, v68
	v_add_f32_e32 v90, v91, v90
	v_add_f32_e32 v23, v61, v23
	v_add_f32_e32 v61, v57, v67
	v_mul_f32_e32 v91, 0xbf65296c, v73
	v_add_f32_e32 v89, v92, v89
	v_mov_b32_e32 v92, v91
	v_fma_f32 v91, v61, s7, -v91
	v_fmac_f32_e32 v92, 0x3ee437d1, v61
	v_add_f32_e32 v75, v91, v75
	v_mul_f32_e32 v91, 0xbf4c4adb, v73
	v_add_f32_e32 v76, v92, v76
	v_mov_b32_e32 v92, v91
	v_fma_f32 v91, v61, s15, -v91
	v_fmac_f32_e32 v92, 0xbf1a4643, v61
	v_add_f32_e32 v77, v91, v77
	v_mul_f32_e32 v91, 0x3e3c28d5, v73
	v_add_f32_e32 v78, v92, v78
	v_mov_b32_e32 v92, v91
	v_fma_f32 v91, v61, s17, -v91
	v_fmac_f32_e32 v92, 0xbf7ba420, v61
	v_add_f32_e32 v80, v91, v80
	v_mul_f32_e32 v91, 0x3f763a35, v73
	v_add_f32_e32 v81, v92, v81
	v_mov_b32_e32 v92, v91
	v_fma_f32 v91, v61, s9, -v91
	v_fmac_f32_e32 v92, 0xbe8c1d8e, v61
	v_add_f32_e32 v82, v91, v82
	v_mul_f32_e32 v91, 0x3f2c7751, v73
	v_add_f32_e32 v83, v92, v83
	v_mov_b32_e32 v92, v91
	v_fma_f32 v91, v61, s8, -v91
	v_fmac_f32_e32 v92, 0x3f3d2fb0, v61
	v_add_f32_e32 v84, v91, v84
	v_mul_f32_e32 v91, 0xbeb8f4ab, v73
	v_add_f32_e32 v85, v92, v85
	v_mov_b32_e32 v92, v91
	v_fma_f32 v91, v61, s14, -v91
	v_fmac_f32_e32 v92, 0x3f6eb680, v61
	v_add_f32_e32 v86, v91, v86
	v_mul_f32_e32 v91, 0xbf7ee86f, v73
	v_add_f32_e32 v87, v92, v87
	v_mov_b32_e32 v92, v91
	v_fma_f32 v91, v61, s6, -v91
	v_mul_f32_e32 v73, 0xbf06c442, v73
	v_add_f32_e32 v88, v91, v88
	v_mov_b32_e32 v91, v73
	v_fmac_f32_e32 v92, 0x3dbcf732, v61
	v_fmac_f32_e32 v91, 0xbf59a7d5, v61
	v_fma_f32 v61, v61, s16, -v73
	v_sub_f32_e32 v73, v54, v60
	v_add_f32_e32 v90, v91, v90
	v_add_f32_e32 v23, v61, v23
	v_add_f32_e32 v61, v53, v59
	v_mul_f32_e32 v91, 0xbf7ee86f, v73
	v_add_f32_e32 v89, v92, v89
	v_mov_b32_e32 v92, v91
	v_fma_f32 v91, v61, s6, -v91
	v_fmac_f32_e32 v92, 0x3dbcf732, v61
	v_add_f32_e32 v75, v91, v75
	v_mul_f32_e32 v91, 0xbe3c28d5, v73
	v_add_f32_e32 v76, v92, v76
	v_mov_b32_e32 v92, v91
	v_fma_f32 v91, v61, s17, -v91
	v_fmac_f32_e32 v92, 0xbf7ba420, v61
	v_add_f32_e32 v77, v91, v77
	v_mul_f32_e32 v91, 0x3f763a35, v73
	v_add_f32_e32 v78, v92, v78
	v_mov_b32_e32 v92, v91
	v_fma_f32 v91, v61, s9, -v91
	v_fmac_f32_e32 v92, 0xbe8c1d8e, v61
	v_add_f32_e32 v80, v91, v80
	v_mul_f32_e32 v91, 0x3eb8f4ab, v73
	v_add_f32_e32 v81, v92, v81
	v_mov_b32_e32 v92, v91
	v_fma_f32 v91, v61, s14, -v91
	v_fmac_f32_e32 v92, 0x3f6eb680, v61
	v_add_f32_e32 v82, v91, v82
	v_mul_f32_e32 v91, 0xbf65296c, v73
	v_add_f32_e32 v83, v92, v83
	v_mov_b32_e32 v92, v91
	v_fma_f32 v91, v61, s7, -v91
	v_fmac_f32_e32 v92, 0x3ee437d1, v61
	v_add_f32_e32 v84, v91, v84
	v_mul_f32_e32 v91, 0xbf06c442, v73
	v_add_f32_e32 v85, v92, v85
	v_mov_b32_e32 v92, v91
	v_fma_f32 v91, v61, s16, -v91
	v_fmac_f32_e32 v92, 0xbf59a7d5, v61
	v_add_f32_e32 v86, v91, v86
	v_mul_f32_e32 v91, 0x3f4c4adb, v73
	v_add_f32_e32 v87, v92, v87
	v_mov_b32_e32 v92, v91
	v_fma_f32 v91, v61, s15, -v91
	v_mul_f32_e32 v73, 0x3f2c7751, v73
	v_add_f32_e32 v88, v91, v88
	v_mov_b32_e32 v91, v73
	v_fmac_f32_e32 v92, 0xbf1a4643, v61
	v_fmac_f32_e32 v91, 0x3f3d2fb0, v61
	v_fma_f32 v61, v61, s8, -v73
	v_sub_f32_e32 v73, v50, v56
	v_add_f32_e32 v90, v91, v90
	v_add_f32_e32 v23, v61, v23
	v_add_f32_e32 v61, v49, v55
	v_mul_f32_e32 v91, 0xbf763a35, v73
	v_add_f32_e32 v89, v92, v89
	v_mov_b32_e32 v92, v91
	v_fma_f32 v91, v61, s9, -v91
	v_fmac_f32_e32 v92, 0xbe8c1d8e, v61
	v_add_f32_e32 v75, v91, v75
	v_mul_f32_e32 v91, 0x3f06c442, v73
	v_add_f32_e32 v76, v92, v76
	v_mov_b32_e32 v92, v91
	v_fma_f32 v91, v61, s16, -v91
	v_fmac_f32_e32 v92, 0xbf59a7d5, v61
	v_add_f32_e32 v77, v91, v77
	v_mul_f32_e32 v91, 0x3f2c7751, v73
	v_add_f32_e32 v78, v92, v78
	v_mov_b32_e32 v92, v91
	v_fma_f32 v91, v61, s8, -v91
	v_fmac_f32_e32 v92, 0x3f3d2fb0, v61
	v_add_f32_e32 v80, v91, v80
	v_mul_f32_e32 v91, 0xbf65296c, v73
	v_add_f32_e32 v81, v92, v81
	v_mov_b32_e32 v92, v91
	v_fma_f32 v91, v61, s7, -v91
	v_fmac_f32_e32 v92, 0x3ee437d1, v61
	v_add_f32_e32 v82, v91, v82
	v_mul_f32_e32 v91, 0xbe3c28d5, v73
	v_add_f32_e32 v83, v92, v83
	v_mov_b32_e32 v92, v91
	v_fma_f32 v91, v61, s17, -v91
	v_fmac_f32_e32 v92, 0xbf7ba420, v61
	v_add_f32_e32 v84, v91, v84
	v_mul_f32_e32 v91, 0x3f7ee86f, v73
	v_add_f32_e32 v85, v92, v85
	v_mov_b32_e32 v92, v91
	v_fma_f32 v91, v61, s6, -v91
	v_fmac_f32_e32 v92, 0x3dbcf732, v61
	v_add_f32_e32 v86, v91, v86
	v_mul_f32_e32 v91, 0xbeb8f4ab, v73
	v_add_f32_e32 v87, v92, v87
	v_mov_b32_e32 v92, v91
	v_fma_f32 v91, v61, s14, -v91
	v_mul_f32_e32 v73, 0xbf4c4adb, v73
	v_add_f32_e32 v88, v91, v88
	v_mov_b32_e32 v91, v73
	v_fmac_f32_e32 v92, 0x3f6eb680, v61
	v_fmac_f32_e32 v91, 0xbf1a4643, v61
	v_fma_f32 v61, v61, s15, -v73
	v_sub_f32_e32 v73, v46, v52
	v_add_f32_e32 v90, v91, v90
	v_add_f32_e32 v23, v61, v23
	v_add_f32_e32 v61, v45, v51
	v_mul_f32_e32 v91, 0xbf4c4adb, v73
	v_add_f32_e32 v89, v92, v89
	v_mov_b32_e32 v92, v91
	v_fma_f32 v91, v61, s15, -v91
	v_fmac_f32_e32 v92, 0xbf1a4643, v61
	v_add_f32_e32 v75, v91, v75
	v_mul_f32_e32 v91, 0x3f763a35, v73
	v_add_f32_e32 v76, v92, v76
	v_mov_b32_e32 v92, v91
	v_fma_f32 v91, v61, s9, -v91
	v_fmac_f32_e32 v92, 0xbe8c1d8e, v61
	v_add_f32_e32 v77, v91, v77
	v_mul_f32_e32 v91, 0xbeb8f4ab, v73
	v_add_f32_e32 v78, v92, v78
	v_mov_b32_e32 v92, v91
	v_fma_f32 v91, v61, s14, -v91
	v_fmac_f32_e32 v92, 0x3f6eb680, v61
	v_add_f32_e32 v80, v91, v80
	v_mul_f32_e32 v91, 0xbf06c442, v73
	v_add_f32_e32 v81, v92, v81
	v_mov_b32_e32 v92, v91
	v_fma_f32 v91, v61, s16, -v91
	v_fmac_f32_e32 v92, 0xbf59a7d5, v61
	v_add_f32_e32 v82, v91, v82
	v_mul_f32_e32 v91, 0x3f7ee86f, v73
	v_add_f32_e32 v83, v92, v83
	v_mov_b32_e32 v92, v91
	v_fma_f32 v91, v61, s6, -v91
	v_fmac_f32_e32 v92, 0x3dbcf732, v61
	v_add_f32_e32 v84, v91, v84
	v_mul_f32_e32 v91, 0xbf2c7751, v73
	v_add_f32_e32 v85, v92, v85
	v_mov_b32_e32 v92, v91
	v_fma_f32 v91, v61, s8, -v91
	v_fmac_f32_e32 v92, 0x3f3d2fb0, v61
	v_add_f32_e32 v86, v91, v86
	v_mul_f32_e32 v91, 0xbe3c28d5, v73
	v_add_f32_e32 v87, v92, v87
	v_mov_b32_e32 v92, v91
	v_fma_f32 v91, v61, s17, -v91
	v_mul_f32_e32 v73, 0x3f65296c, v73
	v_add_f32_e32 v88, v91, v88
	v_mov_b32_e32 v91, v73
	v_fmac_f32_e32 v92, 0xbf7ba420, v61
	v_fmac_f32_e32 v91, 0x3ee437d1, v61
	v_fma_f32 v61, v61, s7, -v73
	v_sub_f32_e32 v73, v40, v48
	v_add_f32_e32 v90, v91, v90
	v_add_f32_e32 v23, v61, v23
	v_add_f32_e32 v61, v47, v39
	v_mul_f32_e32 v91, 0xbf06c442, v73
	v_add_f32_e32 v89, v92, v89
	v_mov_b32_e32 v92, v91
	v_fma_f32 v91, v61, s16, -v91
	v_fmac_f32_e32 v92, 0xbf59a7d5, v61
	v_add_f32_e32 v75, v75, v91
	v_mul_f32_e32 v91, 0x3f65296c, v73
	v_add_f32_e32 v76, v76, v92
	v_mov_b32_e32 v92, v91
	v_fma_f32 v91, v61, s7, -v91
	v_fmac_f32_e32 v92, 0x3ee437d1, v61
	v_add_f32_e32 v77, v77, v91
	v_mul_f32_e32 v91, 0xbf7ee86f, v73
	v_add_f32_e32 v78, v78, v92
	v_mov_b32_e32 v92, v91
	v_fma_f32 v91, v61, s6, -v91
	v_fmac_f32_e32 v92, 0x3dbcf732, v61
	v_add_f32_e32 v80, v80, v91
	v_mul_f32_e32 v91, 0x3f4c4adb, v73
	v_add_f32_e32 v81, v81, v92
	v_mov_b32_e32 v92, v91
	v_fma_f32 v91, v61, s15, -v91
	v_fmac_f32_e32 v92, 0xbf1a4643, v61
	v_add_f32_e32 v82, v82, v91
	v_mul_f32_e32 v91, 0xbeb8f4ab, v73
	v_add_f32_e32 v83, v83, v92
	v_mov_b32_e32 v92, v91
	v_fma_f32 v91, v61, s14, -v91
	v_fmac_f32_e32 v92, 0x3f6eb680, v61
	v_add_f32_e32 v84, v84, v91
	v_mul_f32_e32 v91, 0xbe3c28d5, v73
	v_add_f32_e32 v85, v85, v92
	v_mov_b32_e32 v92, v91
	v_fma_f32 v91, v61, s17, -v91
	v_fmac_f32_e32 v92, 0xbf7ba420, v61
	v_add_f32_e32 v86, v86, v91
	v_mul_f32_e32 v91, 0x3f2c7751, v73
	v_add_f32_e32 v87, v87, v92
	v_mov_b32_e32 v92, v91
	v_fma_f32 v91, v61, s8, -v91
	v_mul_f32_e32 v73, 0xbf763a35, v73
	v_add_f32_e32 v88, v88, v91
	v_mov_b32_e32 v91, v73
	v_fmac_f32_e32 v92, 0x3f3d2fb0, v61
	v_fmac_f32_e32 v91, 0xbe8c1d8e, v61
	v_fma_f32 v61, v61, s9, -v73
	v_sub_f32_e32 v73, v38, v44
	v_add_f32_e32 v90, v90, v91
	v_add_f32_e32 v23, v23, v61
	v_add_f32_e32 v61, v43, v37
	v_mul_f32_e32 v91, 0xbe3c28d5, v73
	v_add_f32_e32 v89, v89, v92
	v_mov_b32_e32 v92, v91
	v_fma_f32 v91, v61, s17, -v91
	v_add_f32_e32 v0, v0, v63
	v_fmac_f32_e32 v92, 0xbf7ba420, v61
	v_add_f32_e32 v75, v75, v91
	v_mul_f32_e32 v91, 0x3eb8f4ab, v73
	v_add_f32_e32 v0, v0, v57
	v_add_f32_e32 v76, v76, v92
	v_mov_b32_e32 v92, v91
	v_fma_f32 v91, v61, s14, -v91
	v_add_f32_e32 v0, v0, v53
	v_fmac_f32_e32 v92, 0x3f6eb680, v61
	v_add_f32_e32 v77, v77, v91
	v_mul_f32_e32 v91, 0xbf06c442, v73
	v_add_f32_e32 v0, v0, v49
	v_add_f32_e32 v78, v78, v92
	;; [unrolled: 8-line block ×6, first 2 shown]
	v_mov_b32_e32 v92, v91
	v_fma_f32 v91, v61, s9, -v91
	v_mul_f32_e32 v73, 0x3f7ee86f, v73
	v_add_f32_e32 v0, v0, v67
	v_add_f32_e32 v88, v88, v91
	v_mov_b32_e32 v91, v73
	v_add_f32_e32 v0, v0, v69
	v_fmac_f32_e32 v92, 0xbe8c1d8e, v61
	v_fmac_f32_e32 v91, 0x3dbcf732, v61
	v_fma_f32 v61, v61, s6, -v73
	s_movk_i32 s4, 0x44
	v_add_f32_e32 v0, v0, v71
	v_add_f32_e32 v61, v23, v61
	v_mad_u32_u24 v23, v79, s4, 0
	v_cmp_gt_u32_e32 vcc, 48, v79
	v_add_f32_e32 v89, v89, v92
	v_add_f32_e32 v90, v90, v91
	ds_write2_b32 v23, v0, v76 offset1:1
	ds_write2_b32 v23, v78, v81 offset0:2 offset1:3
	ds_write2_b32 v23, v83, v85 offset0:4 offset1:5
	ds_write2_b32 v23, v87, v89 offset0:6 offset1:7
	ds_write2_b32 v23, v90, v61 offset0:8 offset1:9
	ds_write2_b32 v23, v88, v86 offset0:10 offset1:11
	ds_write2_b32 v23, v84, v82 offset0:12 offset1:13
	ds_write2_b32 v23, v80, v77 offset0:14 offset1:15
	ds_write_b32 v23, v75 offset:64
	s_and_saveexec_b64 s[4:5], vcc
	s_cbranch_execz .LBB0_17
; %bb.16:
	v_add_f32_e32 v0, v35, v41
	v_mul_f32_e32 v61, 0xbf7ba420, v0
	v_add_f32_e32 v76, v31, v33
	v_sub_f32_e32 v73, v36, v42
	v_mov_b32_e32 v75, v61
	v_mul_f32_e32 v77, 0x3f6eb680, v76
	v_fmac_f32_e32 v75, 0x3e3c28d5, v73
	v_sub_f32_e32 v78, v32, v34
	v_mov_b32_e32 v80, v77
	v_add_f32_e32 v75, v74, v75
	v_fmac_f32_e32 v80, 0xbeb8f4ab, v78
	v_add_f32_e32 v75, v75, v80
	v_add_f32_e32 v80, v27, v29
	v_mul_f32_e32 v81, 0xbf59a7d5, v80
	v_sub_f32_e32 v82, v28, v30
	v_mov_b32_e32 v83, v81
	v_fmac_f32_e32 v83, 0x3f06c442, v82
	v_add_f32_e32 v75, v75, v83
	v_add_f32_e32 v83, v21, v25
	v_mul_f32_e32 v84, 0x3f3d2fb0, v83
	v_sub_f32_e32 v85, v22, v26
	v_mov_b32_e32 v86, v84
	v_fmac_f32_e32 v86, 0xbf2c7751, v85
	v_add_f32_e32 v75, v75, v86
	v_add_f32_e32 v86, v19, v17
	v_mul_f32_e32 v87, 0xbf1a4643, v86
	v_fmac_f32_e32 v61, 0xbe3c28d5, v73
	v_sub_f32_e32 v88, v20, v18
	v_mov_b32_e32 v89, v87
	v_add_f32_e32 v61, v74, v61
	v_fmac_f32_e32 v77, 0x3eb8f4ab, v78
	v_fmac_f32_e32 v89, 0x3f4c4adb, v88
	v_add_f32_e32 v61, v61, v77
	v_fmac_f32_e32 v81, 0xbf06c442, v82
	v_add_f32_e32 v75, v75, v89
	v_add_f32_e32 v89, v13, v15
	;; [unrolled: 1-line block ×3, first 2 shown]
	v_fmac_f32_e32 v84, 0x3f2c7751, v85
	v_mul_f32_e32 v77, 0xbf59a7d5, v0
	v_mul_f32_e32 v90, 0x3ee437d1, v89
	v_add_f32_e32 v61, v61, v84
	v_fmac_f32_e32 v87, 0xbf4c4adb, v88
	v_mov_b32_e32 v81, v77
	v_mul_f32_e32 v84, 0x3ee437d1, v76
	v_sub_f32_e32 v91, v14, v16
	v_mov_b32_e32 v92, v90
	v_add_f32_e32 v61, v61, v87
	v_fmac_f32_e32 v81, 0x3f06c442, v73
	v_mov_b32_e32 v87, v84
	v_fmac_f32_e32 v92, 0xbf65296c, v91
	v_add_f32_e32 v81, v74, v81
	v_fmac_f32_e32 v87, 0xbf65296c, v78
	v_add_f32_e32 v75, v75, v92
	v_add_f32_e32 v92, v11, v9
	v_fmac_f32_e32 v90, 0x3f65296c, v91
	v_add_f32_e32 v81, v81, v87
	v_mul_f32_e32 v87, 0x3dbcf732, v80
	v_mul_f32_e32 v93, 0xbe8c1d8e, v92
	v_add_f32_e32 v61, v61, v90
	v_mov_b32_e32 v90, v87
	v_sub_f32_e32 v94, v12, v10
	v_mov_b32_e32 v95, v93
	v_fmac_f32_e32 v90, 0x3f7ee86f, v82
	v_fmac_f32_e32 v95, 0x3f763a35, v94
	v_fmac_f32_e32 v93, 0xbf763a35, v94
	v_add_f32_e32 v81, v81, v90
	v_mul_f32_e32 v90, 0xbf1a4643, v83
	v_fmac_f32_e32 v77, 0xbf06c442, v73
	v_add_f32_e32 v75, v95, v75
	v_add_f32_e32 v95, v5, v7
	;; [unrolled: 1-line block ×3, first 2 shown]
	v_mov_b32_e32 v93, v90
	v_add_f32_e32 v77, v74, v77
	v_fmac_f32_e32 v84, 0x3f65296c, v78
	v_mul_f32_e32 v96, 0x3dbcf732, v95
	v_sub_f32_e32 v97, v6, v8
	v_fmac_f32_e32 v93, 0xbf4c4adb, v85
	v_add_f32_e32 v77, v77, v84
	v_fmac_f32_e32 v87, 0xbf7ee86f, v82
	v_mov_b32_e32 v98, v96
	v_fmac_f32_e32 v96, 0x3f7ee86f, v97
	v_add_f32_e32 v81, v81, v93
	v_mul_f32_e32 v93, 0x3f6eb680, v86
	v_add_f32_e32 v77, v77, v87
	v_fmac_f32_e32 v90, 0x3f4c4adb, v85
	v_mul_f32_e32 v84, 0xbf1a4643, v0
	v_add_f32_e32 v61, v96, v61
	v_mov_b32_e32 v96, v93
	v_add_f32_e32 v77, v77, v90
	v_fmac_f32_e32 v93, 0xbeb8f4ab, v88
	v_mov_b32_e32 v87, v84
	v_mul_f32_e32 v90, 0xbe8c1d8e, v76
	v_fmac_f32_e32 v96, 0x3eb8f4ab, v88
	v_add_f32_e32 v77, v77, v93
	v_fmac_f32_e32 v87, 0x3f4c4adb, v73
	v_mov_b32_e32 v93, v90
	v_fmac_f32_e32 v98, 0xbf7ee86f, v97
	v_add_f32_e32 v81, v81, v96
	v_mul_f32_e32 v96, 0xbf7ba420, v89
	v_add_f32_e32 v87, v74, v87
	v_fmac_f32_e32 v93, 0xbf763a35, v78
	v_add_f32_e32 v75, v98, v75
	v_mov_b32_e32 v98, v96
	v_fmac_f32_e32 v96, 0xbe3c28d5, v91
	v_add_f32_e32 v87, v87, v93
	v_mul_f32_e32 v93, 0x3f6eb680, v80
	v_fmac_f32_e32 v98, 0x3e3c28d5, v91
	v_add_f32_e32 v77, v77, v96
	v_mov_b32_e32 v96, v93
	v_add_f32_e32 v81, v81, v98
	v_mul_f32_e32 v98, 0x3f3d2fb0, v92
	v_fmac_f32_e32 v96, 0x3eb8f4ab, v82
	v_mov_b32_e32 v99, v98
	v_fmac_f32_e32 v98, 0x3f2c7751, v94
	v_add_f32_e32 v87, v87, v96
	v_mul_f32_e32 v96, 0xbf59a7d5, v83
	v_fmac_f32_e32 v84, 0xbf4c4adb, v73
	v_fmac_f32_e32 v99, 0xbf2c7751, v94
	v_add_f32_e32 v77, v98, v77
	v_mov_b32_e32 v98, v96
	v_add_f32_e32 v84, v74, v84
	v_fmac_f32_e32 v90, 0x3f763a35, v78
	v_add_f32_e32 v81, v99, v81
	v_mul_f32_e32 v99, 0xbe8c1d8e, v95
	v_fmac_f32_e32 v98, 0x3f06c442, v85
	v_add_f32_e32 v84, v84, v90
	v_fmac_f32_e32 v93, 0xbeb8f4ab, v82
	v_mov_b32_e32 v100, v99
	v_fmac_f32_e32 v99, 0xbf763a35, v97
	v_add_f32_e32 v87, v87, v98
	v_mul_f32_e32 v98, 0x3dbcf732, v86
	v_add_f32_e32 v84, v84, v93
	v_fmac_f32_e32 v96, 0xbf06c442, v85
	v_mul_f32_e32 v90, 0xbe8c1d8e, v0
	v_add_f32_e32 v77, v99, v77
	v_mov_b32_e32 v99, v98
	v_add_f32_e32 v84, v84, v96
	v_fmac_f32_e32 v98, 0x3f7ee86f, v88
	v_mov_b32_e32 v93, v90
	v_mul_f32_e32 v96, 0xbf59a7d5, v76
	v_fmac_f32_e32 v99, 0xbf7ee86f, v88
	v_add_f32_e32 v84, v84, v98
	v_fmac_f32_e32 v93, 0x3f763a35, v73
	v_mov_b32_e32 v98, v96
	v_fmac_f32_e32 v100, 0x3f763a35, v97
	v_add_f32_e32 v87, v87, v99
	v_mul_f32_e32 v99, 0x3f3d2fb0, v89
	v_add_f32_e32 v93, v74, v93
	v_fmac_f32_e32 v98, 0xbf06c442, v78
	v_add_f32_e32 v81, v100, v81
	v_mov_b32_e32 v100, v99
	v_fmac_f32_e32 v99, 0xbf2c7751, v91
	v_add_f32_e32 v93, v93, v98
	v_mul_f32_e32 v98, 0x3f3d2fb0, v80
	v_fmac_f32_e32 v100, 0x3f2c7751, v91
	v_add_f32_e32 v84, v84, v99
	v_mov_b32_e32 v99, v98
	v_add_f32_e32 v87, v87, v100
	v_mul_f32_e32 v100, 0xbf7ba420, v92
	v_fmac_f32_e32 v99, 0xbf2c7751, v82
	v_mov_b32_e32 v101, v100
	v_fmac_f32_e32 v100, 0xbe3c28d5, v94
	v_add_f32_e32 v93, v93, v99
	v_mul_f32_e32 v99, 0x3ee437d1, v83
	v_fmac_f32_e32 v90, 0xbf763a35, v73
	v_fmac_f32_e32 v101, 0x3e3c28d5, v94
	v_add_f32_e32 v84, v100, v84
	v_mov_b32_e32 v100, v99
	v_add_f32_e32 v90, v74, v90
	v_fmac_f32_e32 v96, 0x3f06c442, v78
	v_add_f32_e32 v87, v101, v87
	v_mul_f32_e32 v101, 0x3ee437d1, v95
	;; [unrolled: 48-line block ×4, first 2 shown]
	v_fmac_f32_e32 v104, 0xbf763a35, v85
	v_add_f32_e32 v99, v99, v101
	v_fmac_f32_e32 v102, 0x3e3c28d5, v82
	v_mov_b32_e32 v106, v105
	v_fmac_f32_e32 v105, 0x3f2c7751, v97
	v_add_f32_e32 v100, v100, v104
	v_mul_f32_e32 v104, 0x3f3d2fb0, v86
	v_add_f32_e32 v99, v99, v102
	v_fmac_f32_e32 v103, 0x3f763a35, v85
	v_mul_f32_e32 v101, 0x3f3d2fb0, v0
	v_add_f32_e32 v96, v105, v96
	v_mov_b32_e32 v105, v104
	v_add_f32_e32 v99, v99, v103
	v_fmac_f32_e32 v104, 0x3f2c7751, v88
	v_mov_b32_e32 v102, v101
	v_mul_f32_e32 v103, 0x3dbcf732, v76
	v_fmac_f32_e32 v105, 0xbf2c7751, v88
	v_add_f32_e32 v99, v99, v104
	v_fmac_f32_e32 v102, 0x3f2c7751, v73
	v_mov_b32_e32 v104, v103
	v_fmac_f32_e32 v106, 0xbf2c7751, v97
	v_add_f32_e32 v100, v100, v105
	v_mul_f32_e32 v105, 0x3f6eb680, v89
	v_add_f32_e32 v102, v74, v102
	v_fmac_f32_e32 v104, 0x3f7ee86f, v78
	v_fmac_f32_e32 v101, 0xbf2c7751, v73
	v_add_f32_e32 v98, v106, v98
	v_mov_b32_e32 v106, v105
	v_fmac_f32_e32 v105, 0xbeb8f4ab, v91
	v_add_f32_e32 v102, v102, v104
	v_mul_f32_e32 v104, 0xbf1a4643, v80
	v_add_f32_e32 v101, v74, v101
	v_fmac_f32_e32 v103, 0xbf7ee86f, v78
	v_mul_f32_e32 v0, 0x3f6eb680, v0
	v_fmac_f32_e32 v106, 0x3eb8f4ab, v91
	v_add_f32_e32 v99, v99, v105
	v_mov_b32_e32 v105, v104
	v_add_f32_e32 v101, v101, v103
	v_mov_b32_e32 v103, v0
	v_add_f32_e32 v100, v100, v106
	v_mul_f32_e32 v106, 0x3dbcf732, v92
	v_fmac_f32_e32 v105, 0x3f4c4adb, v82
	v_fmac_f32_e32 v103, 0x3eb8f4ab, v73
	;; [unrolled: 1-line block ×3, first 2 shown]
	v_add_f32_e32 v73, v74, v35
	v_mov_b32_e32 v107, v106
	v_fmac_f32_e32 v106, 0xbf7ee86f, v94
	v_add_f32_e32 v102, v102, v105
	v_mul_f32_e32 v105, 0xbf7ba420, v83
	v_fmac_f32_e32 v104, 0xbf4c4adb, v82
	v_mul_f32_e32 v76, 0x3f3d2fb0, v76
	v_add_f32_e32 v73, v73, v31
	v_fmac_f32_e32 v107, 0x3f7ee86f, v94
	v_add_f32_e32 v99, v106, v99
	v_mov_b32_e32 v106, v105
	v_add_f32_e32 v101, v101, v104
	v_mov_b32_e32 v104, v76
	v_add_f32_e32 v73, v73, v27
	v_add_f32_e32 v100, v107, v100
	v_mul_f32_e32 v107, 0xbf59a7d5, v95
	v_fmac_f32_e32 v106, 0x3e3c28d5, v85
	v_add_f32_e32 v103, v74, v103
	v_fmac_f32_e32 v104, 0x3f2c7751, v78
	v_mul_f32_e32 v80, 0x3ee437d1, v80
	v_add_f32_e32 v73, v73, v21
	v_mov_b32_e32 v108, v107
	v_fmac_f32_e32 v107, 0xbf06c442, v97
	v_add_f32_e32 v102, v102, v106
	v_mul_f32_e32 v106, 0xbf59a7d5, v86
	v_add_f32_e32 v103, v103, v104
	v_mov_b32_e32 v104, v80
	v_add_f32_e32 v73, v73, v19
	v_add_f32_e32 v99, v107, v99
	v_mov_b32_e32 v107, v106
	v_fmac_f32_e32 v104, 0x3f65296c, v82
	v_mul_f32_e32 v83, 0x3dbcf732, v83
	v_add_f32_e32 v73, v73, v13
	v_fmac_f32_e32 v107, 0xbf06c442, v88
	v_add_f32_e32 v103, v103, v104
	v_mov_b32_e32 v104, v83
	v_add_f32_e32 v73, v73, v11
	v_fmac_f32_e32 v108, 0x3f06c442, v97
	v_add_f32_e32 v102, v102, v107
	v_mul_f32_e32 v107, 0xbe8c1d8e, v89
	v_fmac_f32_e32 v104, 0x3f7ee86f, v85
	v_mul_f32_e32 v86, 0xbe8c1d8e, v86
	v_add_f32_e32 v73, v73, v5
	v_add_f32_e32 v100, v108, v100
	v_mov_b32_e32 v108, v107
	v_add_f32_e32 v103, v103, v104
	v_mov_b32_e32 v104, v86
	v_add_f32_e32 v0, v74, v0
	v_fmac_f32_e32 v76, 0xbf2c7751, v78
	v_add_f32_e32 v73, v73, v7
	v_fmac_f32_e32 v108, 0xbf763a35, v91
	v_fmac_f32_e32 v104, 0x3f763a35, v88
	v_mul_f32_e32 v89, 0xbf1a4643, v89
	v_add_f32_e32 v0, v0, v76
	v_fmac_f32_e32 v80, 0xbf65296c, v82
	v_add_f32_e32 v73, v73, v9
	v_add_f32_e32 v102, v102, v108
	v_mul_f32_e32 v108, 0x3ee437d1, v92
	v_add_f32_e32 v103, v103, v104
	v_mov_b32_e32 v104, v89
	v_add_f32_e32 v0, v0, v80
	v_fmac_f32_e32 v83, 0xbf7ee86f, v85
	v_add_f32_e32 v73, v73, v15
	v_mov_b32_e32 v109, v108
	v_fmac_f32_e32 v105, 0xbe3c28d5, v85
	v_fmac_f32_e32 v104, 0x3f4c4adb, v91
	v_mul_f32_e32 v92, 0xbf59a7d5, v92
	v_add_f32_e32 v0, v0, v83
	v_fmac_f32_e32 v86, 0xbf763a35, v88
	v_add_f32_e32 v73, v17, v73
	v_fmac_f32_e32 v109, 0xbf65296c, v94
	;; [unrolled: 2-line block ×3, first 2 shown]
	v_add_f32_e32 v103, v103, v104
	v_mov_b32_e32 v104, v92
	v_add_f32_e32 v0, v0, v86
	v_fmac_f32_e32 v89, 0xbf4c4adb, v91
	v_add_f32_e32 v73, v25, v73
	v_add_f32_e32 v102, v109, v102
	v_mul_f32_e32 v109, 0x3f6eb680, v95
	v_add_f32_e32 v101, v101, v106
	v_fmac_f32_e32 v107, 0x3f763a35, v91
	v_fmac_f32_e32 v104, 0x3f06c442, v94
	v_mul_f32_e32 v95, 0xbf7ba420, v95
	v_add_f32_e32 v0, v0, v89
	v_fmac_f32_e32 v92, 0xbf06c442, v94
	v_add_f32_e32 v73, v29, v73
	v_add_f32_e32 v101, v101, v107
	v_fmac_f32_e32 v108, 0x3f65296c, v94
	v_add_f32_e32 v103, v104, v103
	v_mov_b32_e32 v104, v95
	v_add_f32_e32 v0, v92, v0
	v_fmac_f32_e32 v95, 0xbe3c28d5, v97
	v_add_f32_e32 v73, v33, v73
	v_mov_b32_e32 v110, v109
	v_add_f32_e32 v101, v108, v101
	v_fmac_f32_e32 v109, 0x3eb8f4ab, v97
	v_add_f32_e32 v0, v95, v0
	v_add_f32_e32 v73, v41, v73
	v_add_u32_e32 v74, 0xd8c, v23
	v_add_f32_e32 v101, v109, v101
	ds_write2_b32 v74, v73, v0 offset1:1
	v_add_u32_e32 v0, 0xd94, v23
	ds_write2_b32 v0, v101, v99 offset1:1
	v_add_u32_e32 v0, 0xd9c, v23
	;; [unrolled: 2-line block ×5, first 2 shown]
	v_fmac_f32_e32 v110, 0xbeb8f4ab, v97
	ds_write2_b32 v0, v81, v87 offset1:1
	v_add_u32_e32 v0, 0xdbc, v23
	v_add_f32_e32 v102, v110, v102
	v_fmac_f32_e32 v104, 0x3e3c28d5, v97
	ds_write2_b32 v0, v93, v98 offset1:1
	v_add_u32_e32 v0, 0xdc4, v23
	v_add_f32_e32 v103, v104, v103
	ds_write2_b32 v0, v100, v102 offset1:1
	ds_write_b32 v23, v103 offset:3532
.LBB0_17:
	s_or_b64 exec, exec, s[4:5]
	v_add_f32_e32 v0, v62, v66
	v_add_f32_e32 v0, v0, v64
	;; [unrolled: 1-line block ×15, first 2 shown]
	v_sub_f32_e32 v61, v65, v71
	v_add_f32_e32 v74, v0, v72
	v_add_f32_e32 v0, v66, v72
	v_mul_f32_e32 v65, 0xbeb8f4ab, v61
	v_mul_f32_e32 v71, 0xbf2c7751, v61
	;; [unrolled: 1-line block ×8, first 2 shown]
	v_fma_f32 v66, v0, s14, -v65
	v_fmac_f32_e32 v65, 0x3f6eb680, v0
	v_fma_f32 v72, v0, s8, -v71
	v_fmac_f32_e32 v71, 0x3f3d2fb0, v0
	;; [unrolled: 2-line block ×8, first 2 shown]
	v_add_f32_e32 v66, v66, v62
	v_add_f32_e32 v65, v65, v62
	;; [unrolled: 1-line block ×16, first 2 shown]
	v_sub_f32_e32 v62, v63, v69
	v_add_f32_e32 v61, v64, v70
	v_mul_f32_e32 v63, 0xbf2c7751, v62
	v_fma_f32 v64, v61, s8, -v63
	v_fmac_f32_e32 v63, 0x3f3d2fb0, v61
	v_add_f32_e32 v63, v63, v65
	v_mul_f32_e32 v65, 0xbf7ee86f, v62
	v_add_f32_e32 v64, v64, v66
	v_fma_f32 v66, v61, s6, -v65
	v_fmac_f32_e32 v65, 0x3dbcf732, v61
	v_mul_f32_e32 v69, 0xbf4c4adb, v62
	v_add_f32_e32 v65, v65, v71
	v_fma_f32 v70, v61, s15, -v69
	v_fmac_f32_e32 v69, 0xbf1a4643, v61
	v_mul_f32_e32 v71, 0xbe3c28d5, v62
	v_add_f32_e32 v66, v66, v72
	v_add_f32_e32 v69, v69, v73
	v_fma_f32 v72, v61, s17, -v71
	v_fmac_f32_e32 v71, 0xbf7ba420, v61
	v_mul_f32_e32 v73, 0x3f06c442, v62
	v_add_f32_e32 v70, v70, v75
	v_add_f32_e32 v71, v71, v76
	v_fma_f32 v75, v61, s16, -v73
	v_fmac_f32_e32 v73, 0xbf59a7d5, v61
	v_mul_f32_e32 v76, 0x3f763a35, v62
	v_add_f32_e32 v72, v72, v77
	v_add_f32_e32 v73, v73, v78
	v_fma_f32 v77, v61, s9, -v76
	v_fmac_f32_e32 v76, 0xbe8c1d8e, v61
	v_mul_f32_e32 v78, 0x3f65296c, v62
	v_mul_f32_e32 v62, 0x3eb8f4ab, v62
	v_sub_f32_e32 v57, v57, v67
	v_add_f32_e32 v75, v75, v80
	v_add_f32_e32 v76, v76, v81
	v_fma_f32 v80, v61, s7, -v78
	v_fmac_f32_e32 v78, 0x3ee437d1, v61
	v_fma_f32 v81, v61, s14, -v62
	v_fmac_f32_e32 v62, 0x3f6eb680, v61
	v_add_f32_e32 v58, v58, v68
	v_mul_f32_e32 v61, 0xbf65296c, v57
	v_add_f32_e32 v0, v62, v0
	v_fma_f32 v62, v58, s7, -v61
	v_fmac_f32_e32 v61, 0x3ee437d1, v58
	v_add_f32_e32 v61, v61, v63
	v_mul_f32_e32 v63, 0xbf4c4adb, v57
	v_add_f32_e32 v62, v62, v64
	;; [unrolled: 5-line block ×3, first 2 shown]
	v_fma_f32 v66, v58, s17, -v65
	v_fmac_f32_e32 v65, 0xbf7ba420, v58
	v_mul_f32_e32 v67, 0x3f763a35, v57
	v_add_f32_e32 v65, v65, v69
	v_fma_f32 v68, v58, s9, -v67
	v_fmac_f32_e32 v67, 0xbe8c1d8e, v58
	v_mul_f32_e32 v69, 0x3f2c7751, v57
	v_add_f32_e32 v66, v66, v70
	v_add_f32_e32 v67, v67, v71
	v_fma_f32 v70, v58, s8, -v69
	v_fmac_f32_e32 v69, 0x3f3d2fb0, v58
	v_mul_f32_e32 v71, 0xbeb8f4ab, v57
	v_add_f32_e32 v68, v68, v72
	v_add_f32_e32 v69, v69, v73
	v_fma_f32 v72, v58, s14, -v71
	v_fmac_f32_e32 v71, 0x3f6eb680, v58
	v_mul_f32_e32 v73, 0xbf7ee86f, v57
	v_mul_f32_e32 v57, 0xbf06c442, v57
	v_add_f32_e32 v71, v71, v76
	v_fma_f32 v76, v58, s16, -v57
	v_fmac_f32_e32 v57, 0xbf59a7d5, v58
	v_sub_f32_e32 v53, v53, v59
	v_add_f32_e32 v0, v57, v0
	v_add_f32_e32 v54, v54, v60
	v_mul_f32_e32 v57, 0xbf7ee86f, v53
	v_add_f32_e32 v70, v70, v75
	v_fma_f32 v75, v58, s6, -v73
	v_fmac_f32_e32 v73, 0x3dbcf732, v58
	v_fma_f32 v58, v54, s6, -v57
	v_fmac_f32_e32 v57, 0x3dbcf732, v54
	v_mul_f32_e32 v59, 0xbe3c28d5, v53
	v_add_f32_e32 v57, v57, v61
	v_fma_f32 v60, v54, s17, -v59
	v_fmac_f32_e32 v59, 0xbf7ba420, v54
	v_mul_f32_e32 v61, 0x3f763a35, v53
	v_add_f32_e32 v58, v58, v62
	v_add_f32_e32 v59, v59, v63
	v_fma_f32 v62, v54, s9, -v61
	v_fmac_f32_e32 v61, 0xbe8c1d8e, v54
	v_mul_f32_e32 v63, 0x3eb8f4ab, v53
	v_add_f32_e32 v60, v60, v64
	v_add_f32_e32 v61, v61, v65
	v_fma_f32 v64, v54, s14, -v63
	v_fmac_f32_e32 v63, 0x3f6eb680, v54
	v_mul_f32_e32 v65, 0xbf65296c, v53
	v_add_f32_e32 v62, v62, v66
	v_add_f32_e32 v63, v63, v67
	v_fma_f32 v66, v54, s7, -v65
	v_fmac_f32_e32 v65, 0x3ee437d1, v54
	v_mul_f32_e32 v67, 0xbf06c442, v53
	v_add_f32_e32 v64, v64, v68
	v_add_f32_e32 v65, v65, v69
	v_fma_f32 v68, v54, s16, -v67
	v_fmac_f32_e32 v67, 0xbf59a7d5, v54
	v_mul_f32_e32 v69, 0x3f4c4adb, v53
	v_mul_f32_e32 v53, 0x3f2c7751, v53
	v_add_f32_e32 v67, v67, v71
	v_fma_f32 v71, v54, s8, -v53
	v_fmac_f32_e32 v53, 0x3f3d2fb0, v54
	v_sub_f32_e32 v49, v49, v55
	v_add_f32_e32 v0, v53, v0
	v_add_f32_e32 v50, v50, v56
	v_mul_f32_e32 v53, 0xbf763a35, v49
	v_add_f32_e32 v66, v66, v70
	v_fma_f32 v70, v54, s15, -v69
	v_fmac_f32_e32 v69, 0xbf1a4643, v54
	v_fma_f32 v54, v50, s9, -v53
	v_fmac_f32_e32 v53, 0xbe8c1d8e, v50
	v_mul_f32_e32 v55, 0x3f06c442, v49
	v_add_f32_e32 v53, v53, v57
	v_fma_f32 v56, v50, s16, -v55
	v_fmac_f32_e32 v55, 0xbf59a7d5, v50
	v_mul_f32_e32 v57, 0x3f2c7751, v49
	v_add_f32_e32 v54, v54, v58
	v_add_f32_e32 v55, v55, v59
	v_fma_f32 v58, v50, s8, -v57
	v_fmac_f32_e32 v57, 0x3f3d2fb0, v50
	v_mul_f32_e32 v59, 0xbf65296c, v49
	v_add_f32_e32 v56, v56, v60
	;; [unrolled: 38-line block ×4, first 2 shown]
	v_add_f32_e32 v49, v53, v49
	v_fma_f32 v52, v40, s15, -v51
	v_fmac_f32_e32 v51, 0xbf1a4643, v40
	v_mul_f32_e32 v53, 0xbeb8f4ab, v39
	v_add_f32_e32 v50, v54, v50
	v_add_f32_e32 v51, v55, v51
	v_fma_f32 v54, v40, s14, -v53
	v_fmac_f32_e32 v53, 0x3f6eb680, v40
	v_mul_f32_e32 v55, 0xbe3c28d5, v39
	v_add_f32_e32 v52, v56, v52
	v_add_f32_e32 v53, v57, v53
	v_fma_f32 v56, v40, s17, -v55
	v_fmac_f32_e32 v55, 0xbf7ba420, v40
	v_mul_f32_e32 v57, 0x3f2c7751, v39
	v_mul_f32_e32 v39, 0xbf763a35, v39
	v_add_f32_e32 v55, v59, v55
	v_fma_f32 v59, v40, s9, -v39
	v_fmac_f32_e32 v39, 0xbe8c1d8e, v40
	v_sub_f32_e32 v37, v37, v43
	v_add_f32_e32 v0, v0, v39
	v_add_f32_e32 v38, v44, v38
	v_mul_f32_e32 v39, 0xbe3c28d5, v37
	v_add_f32_e32 v54, v58, v54
	v_fma_f32 v58, v40, s8, -v57
	v_fmac_f32_e32 v57, 0x3f3d2fb0, v40
	v_fma_f32 v40, v38, s17, -v39
	v_fmac_f32_e32 v39, 0xbf7ba420, v38
	v_add_f32_e32 v80, v80, v84
	v_add_f32_e32 v84, v45, v39
	v_mul_f32_e32 v39, 0x3eb8f4ab, v37
	v_add_f32_e32 v77, v77, v82
	v_add_f32_e32 v82, v46, v40
	v_fma_f32 v40, v38, s14, -v39
	v_fmac_f32_e32 v39, 0x3f6eb680, v38
	v_add_f32_e32 v86, v47, v39
	v_mul_f32_e32 v39, 0xbf06c442, v37
	v_add_f32_e32 v81, v81, v85
	v_add_f32_e32 v85, v48, v40
	v_fma_f32 v40, v38, s16, -v39
	v_fmac_f32_e32 v39, 0xbf59a7d5, v38
	v_add_f32_e32 v88, v49, v39
	v_mul_f32_e32 v39, 0x3f2c7751, v37
	v_add_f32_e32 v87, v50, v40
	v_fma_f32 v40, v38, s8, -v39
	v_fmac_f32_e32 v39, 0x3f3d2fb0, v38
	v_add_f32_e32 v78, v78, v83
	v_add_f32_e32 v72, v72, v77
	v_add_f32_e32 v90, v51, v39
	v_mul_f32_e32 v39, 0xbf4c4adb, v37
	v_add_f32_e32 v73, v73, v78
	v_add_f32_e32 v68, v68, v72
	v_add_f32_e32 v89, v52, v40
	v_fma_f32 v40, v38, s15, -v39
	v_fmac_f32_e32 v39, 0xbf1a4643, v38
	v_add_f32_e32 v69, v69, v73
	v_add_f32_e32 v64, v64, v68
	v_add_f32_e32 v92, v53, v39
	v_mul_f32_e32 v39, 0x3f65296c, v37
	v_add_f32_e32 v65, v65, v69
	v_add_f32_e32 v60, v60, v64
	;; [unrolled: 9-line block ×3, first 2 shown]
	v_fma_f32 v40, v38, s9, -v39
	v_fmac_f32_e32 v39, 0xbe8c1d8e, v38
	v_mul_f32_e32 v37, 0x3f7ee86f, v37
	v_add_f32_e32 v75, v75, v80
	v_add_f32_e32 v76, v76, v81
	;; [unrolled: 1-line block ×3, first 2 shown]
	v_fma_f32 v39, v38, s6, -v37
	v_fmac_f32_e32 v37, 0x3dbcf732, v38
	v_add_f32_e32 v70, v70, v75
	v_add_f32_e32 v71, v71, v76
	;; [unrolled: 1-line block ×3, first 2 shown]
	v_lshlrev_b32_e32 v0, 6, v79
	v_add_f32_e32 v66, v66, v70
	v_add_f32_e32 v67, v67, v71
	v_sub_u32_e32 v0, v23, v0
	v_add_f32_e32 v62, v62, v66
	v_add_f32_e32 v63, v63, v67
	v_add_u32_e32 v72, 0x600, v0
	v_add_u32_e32 v78, 0x1000, v0
	;; [unrolled: 1-line block ×3, first 2 shown]
	v_add_f32_e32 v58, v62, v58
	v_add_f32_e32 v59, v63, v59
	s_waitcnt lgkmcnt(0)
	; wave barrier
	s_waitcnt lgkmcnt(0)
	ds_read2_b32 v[49:50], v0 offset1:51
	ds_read2_b32 v[37:38], v72 offset0:126 offset1:177
	ds_read2_b32 v[69:70], v78 offset0:98 offset1:149
	;; [unrolled: 1-line block ×7, first 2 shown]
	v_add_u32_e32 v80, 0x1400, v0
	v_add_u32_e32 v75, 0xc00, v0
	;; [unrolled: 1-line block ×3, first 2 shown]
	v_add_f32_e32 v95, v58, v40
	v_add_f32_e32 v97, v59, v39
	ds_read2_b32 v[61:62], v80 offset0:46 offset1:97
	ds_read2_b32 v[59:60], v75 offset0:48 offset1:99
	;; [unrolled: 1-line block ×6, first 2 shown]
	v_add_u32_e32 v81, 0x1600, v0
	v_add_u32_e32 v77, 0xe00, v0
	ds_read2_b32 v[53:54], v81 offset0:122 offset1:173
	ds_read2_b32 v[51:52], v77 offset0:124 offset1:175
	ds_read_b32 v83, v0 offset:6528
	v_add_u32_e32 v71, 51, v79
	s_waitcnt lgkmcnt(0)
	; wave barrier
	s_waitcnt lgkmcnt(0)
	ds_write2_b32 v23, v74, v82 offset1:1
	ds_write2_b32 v23, v85, v87 offset0:2 offset1:3
	ds_write2_b32 v23, v89, v91 offset0:4 offset1:5
	;; [unrolled: 1-line block ×7, first 2 shown]
	ds_write_b32 v23, v84 offset:64
	s_and_saveexec_b64 s[4:5], vcc
	s_cbranch_execz .LBB0_19
; %bb.18:
	v_add_f32_e32 v23, v24, v36
	v_add_f32_e32 v23, v23, v32
	;; [unrolled: 1-line block ×14, first 2 shown]
	v_sub_f32_e32 v35, v35, v41
	v_add_f32_e32 v23, v34, v23
	v_add_f32_e32 v36, v36, v42
	v_mul_f32_e32 v41, 0xbeb8f4ab, v35
	v_mul_f32_e32 v74, 0xbf2c7751, v35
	;; [unrolled: 1-line block ×8, first 2 shown]
	v_sub_f32_e32 v31, v31, v33
	v_add_f32_e32 v23, v42, v23
	v_fma_f32 v42, v36, s14, -v41
	v_fmac_f32_e32 v41, 0x3f6eb680, v36
	v_fma_f32 v82, v36, s8, -v74
	v_fmac_f32_e32 v74, 0x3f3d2fb0, v36
	;; [unrolled: 2-line block ×8, first 2 shown]
	v_add_f32_e32 v32, v32, v34
	v_mul_f32_e32 v33, 0xbf2c7751, v31
	v_add_f32_e32 v42, v24, v42
	v_add_f32_e32 v41, v24, v41
	;; [unrolled: 1-line block ×16, first 2 shown]
	v_fma_f32 v34, v32, s8, -v33
	v_fmac_f32_e32 v33, 0x3f3d2fb0, v32
	v_mul_f32_e32 v35, 0xbf7ee86f, v31
	v_add_f32_e32 v33, v41, v33
	v_fma_f32 v36, v32, s6, -v35
	v_fmac_f32_e32 v35, 0x3dbcf732, v32
	v_mul_f32_e32 v41, 0xbf4c4adb, v31
	v_add_f32_e32 v34, v42, v34
	v_add_f32_e32 v35, v74, v35
	v_fma_f32 v42, v32, s15, -v41
	v_fmac_f32_e32 v41, 0xbf1a4643, v32
	v_mul_f32_e32 v74, 0xbe3c28d5, v31
	v_add_f32_e32 v36, v82, v36
	;; [unrolled: 5-line block ×4, first 2 shown]
	v_add_f32_e32 v84, v88, v84
	v_fma_f32 v87, v32, s9, -v86
	v_fmac_f32_e32 v86, 0xbe8c1d8e, v32
	v_mul_f32_e32 v88, 0x3f65296c, v31
	v_mul_f32_e32 v31, 0x3eb8f4ab, v31
	v_sub_f32_e32 v27, v27, v29
	v_add_f32_e32 v86, v90, v86
	v_fma_f32 v90, v32, s14, -v31
	v_fmac_f32_e32 v31, 0x3f6eb680, v32
	v_add_f32_e32 v28, v28, v30
	v_mul_f32_e32 v29, 0xbf65296c, v27
	v_add_f32_e32 v24, v24, v31
	v_fma_f32 v30, v28, s7, -v29
	v_fmac_f32_e32 v29, 0x3ee437d1, v28
	v_mul_f32_e32 v31, 0xbf4c4adb, v27
	v_add_f32_e32 v85, v89, v85
	v_fma_f32 v89, v32, s7, -v88
	v_fmac_f32_e32 v88, 0x3ee437d1, v32
	v_add_f32_e32 v29, v33, v29
	v_fma_f32 v32, v28, s15, -v31
	v_fmac_f32_e32 v31, 0xbf1a4643, v28
	v_mul_f32_e32 v33, 0x3e3c28d5, v27
	v_add_f32_e32 v30, v34, v30
	v_add_f32_e32 v31, v35, v31
	v_fma_f32 v34, v28, s17, -v33
	v_fmac_f32_e32 v33, 0xbf7ba420, v28
	v_mul_f32_e32 v35, 0x3f763a35, v27
	v_add_f32_e32 v32, v36, v32
	v_add_f32_e32 v33, v41, v33
	v_fma_f32 v36, v28, s9, -v35
	v_fmac_f32_e32 v35, 0xbe8c1d8e, v28
	v_mul_f32_e32 v41, 0x3f2c7751, v27
	v_add_f32_e32 v34, v42, v34
	v_add_f32_e32 v35, v74, v35
	v_fma_f32 v42, v28, s8, -v41
	v_fmac_f32_e32 v41, 0x3f3d2fb0, v28
	v_mul_f32_e32 v74, 0xbeb8f4ab, v27
	v_add_f32_e32 v36, v82, v36
	v_add_f32_e32 v41, v84, v41
	v_fma_f32 v82, v28, s14, -v74
	v_fmac_f32_e32 v74, 0x3f6eb680, v28
	v_mul_f32_e32 v84, 0xbf7ee86f, v27
	v_mul_f32_e32 v27, 0xbf06c442, v27
	v_sub_f32_e32 v21, v21, v25
	v_add_f32_e32 v74, v86, v74
	v_fma_f32 v86, v28, s16, -v27
	v_fmac_f32_e32 v27, 0xbf59a7d5, v28
	v_add_f32_e32 v22, v22, v26
	v_mul_f32_e32 v25, 0xbf7ee86f, v21
	v_add_f32_e32 v24, v24, v27
	v_fma_f32 v26, v22, s6, -v25
	v_fmac_f32_e32 v25, 0x3dbcf732, v22
	v_mul_f32_e32 v27, 0xbe3c28d5, v21
	v_add_f32_e32 v42, v85, v42
	v_fma_f32 v85, v28, s6, -v84
	v_fmac_f32_e32 v84, 0x3dbcf732, v28
	v_add_f32_e32 v25, v29, v25
	v_fma_f32 v28, v22, s17, -v27
	v_fmac_f32_e32 v27, 0xbf7ba420, v22
	v_mul_f32_e32 v29, 0x3f763a35, v21
	v_add_f32_e32 v26, v30, v26
	v_add_f32_e32 v27, v31, v27
	v_fma_f32 v30, v22, s9, -v29
	v_fmac_f32_e32 v29, 0xbe8c1d8e, v22
	v_mul_f32_e32 v31, 0x3eb8f4ab, v21
	v_add_f32_e32 v28, v32, v28
	v_add_f32_e32 v29, v33, v29
	v_fma_f32 v32, v22, s14, -v31
	v_fmac_f32_e32 v31, 0x3f6eb680, v22
	v_mul_f32_e32 v33, 0xbf65296c, v21
	v_add_f32_e32 v30, v34, v30
	v_add_f32_e32 v31, v35, v31
	v_fma_f32 v34, v22, s7, -v33
	v_fmac_f32_e32 v33, 0x3ee437d1, v22
	v_mul_f32_e32 v35, 0xbf06c442, v21
	v_sub_f32_e32 v17, v19, v17
	v_add_f32_e32 v32, v36, v32
	v_add_f32_e32 v33, v41, v33
	v_fma_f32 v36, v22, s16, -v35
	v_fmac_f32_e32 v35, 0xbf59a7d5, v22
	v_mul_f32_e32 v41, 0x3f4c4adb, v21
	v_mul_f32_e32 v21, 0x3f2c7751, v21
	v_add_f32_e32 v18, v20, v18
	v_mul_f32_e32 v19, 0xbf763a35, v17
	v_add_f32_e32 v34, v42, v34
	v_add_f32_e32 v35, v74, v35
	v_fma_f32 v42, v22, s15, -v41
	v_fmac_f32_e32 v41, 0xbf1a4643, v22
	v_fma_f32 v74, v22, s8, -v21
	v_fmac_f32_e32 v21, 0x3f3d2fb0, v22
	v_fma_f32 v20, v18, s9, -v19
	v_fmac_f32_e32 v19, 0xbe8c1d8e, v18
	v_mul_f32_e32 v22, 0x3f06c442, v17
	v_add_f32_e32 v21, v24, v21
	v_add_f32_e32 v19, v25, v19
	v_fma_f32 v24, v18, s16, -v22
	v_fmac_f32_e32 v22, 0xbf59a7d5, v18
	v_mul_f32_e32 v25, 0x3f2c7751, v17
	v_add_f32_e32 v20, v26, v20
	v_add_f32_e32 v22, v27, v22
	v_fma_f32 v26, v18, s8, -v25
	v_fmac_f32_e32 v25, 0x3f3d2fb0, v18
	v_mul_f32_e32 v27, 0xbf65296c, v17
	v_add_f32_e32 v24, v28, v24
	v_add_f32_e32 v25, v29, v25
	v_fma_f32 v28, v18, s7, -v27
	v_fmac_f32_e32 v27, 0x3ee437d1, v18
	v_mul_f32_e32 v29, 0xbe3c28d5, v17
	v_add_f32_e32 v26, v30, v26
	v_add_f32_e32 v27, v31, v27
	v_fma_f32 v30, v18, s17, -v29
	v_fmac_f32_e32 v29, 0xbf7ba420, v18
	v_mul_f32_e32 v31, 0x3f7ee86f, v17
	v_sub_f32_e32 v13, v13, v15
	v_add_f32_e32 v28, v32, v28
	v_add_f32_e32 v29, v33, v29
	v_fma_f32 v32, v18, s6, -v31
	v_fmac_f32_e32 v31, 0x3dbcf732, v18
	v_mul_f32_e32 v33, 0xbeb8f4ab, v17
	v_mul_f32_e32 v17, 0xbf4c4adb, v17
	v_add_f32_e32 v14, v14, v16
	v_mul_f32_e32 v15, 0xbf4c4adb, v13
	v_add_f32_e32 v30, v34, v30
	v_add_f32_e32 v31, v35, v31
	v_fma_f32 v34, v18, s14, -v33
	v_fmac_f32_e32 v33, 0x3f6eb680, v18
	v_fma_f32 v35, v18, s15, -v17
	v_fmac_f32_e32 v17, 0xbf1a4643, v18
	v_fma_f32 v16, v14, s15, -v15
	v_fmac_f32_e32 v15, 0xbf1a4643, v14
	v_mul_f32_e32 v18, 0x3f763a35, v13
	v_add_f32_e32 v16, v20, v16
	v_add_f32_e32 v15, v19, v15
	v_fma_f32 v19, v14, s9, -v18
	v_fmac_f32_e32 v18, 0xbe8c1d8e, v14
	v_mul_f32_e32 v20, 0xbeb8f4ab, v13
	v_add_f32_e32 v17, v21, v17
	v_add_f32_e32 v18, v22, v18
	v_fma_f32 v21, v14, s14, -v20
	v_fmac_f32_e32 v20, 0x3f6eb680, v14
	v_mul_f32_e32 v22, 0xbf06c442, v13
	v_add_f32_e32 v19, v24, v19
	v_add_f32_e32 v20, v25, v20
	v_fma_f32 v24, v14, s16, -v22
	v_fmac_f32_e32 v22, 0xbf59a7d5, v14
	v_mul_f32_e32 v25, 0x3f7ee86f, v13
	v_add_f32_e32 v21, v26, v21
	v_add_f32_e32 v22, v27, v22
	v_fma_f32 v26, v14, s6, -v25
	v_fmac_f32_e32 v25, 0x3dbcf732, v14
	v_mul_f32_e32 v27, 0xbf2c7751, v13
	v_sub_f32_e32 v9, v11, v9
	v_add_f32_e32 v24, v28, v24
	v_add_f32_e32 v25, v29, v25
	v_fma_f32 v28, v14, s8, -v27
	v_fmac_f32_e32 v27, 0x3f3d2fb0, v14
	v_mul_f32_e32 v29, 0xbe3c28d5, v13
	v_mul_f32_e32 v13, 0x3f65296c, v13
	v_add_f32_e32 v10, v12, v10
	v_mul_f32_e32 v11, 0xbf06c442, v9
	v_add_f32_e32 v26, v30, v26
	v_add_f32_e32 v27, v31, v27
	v_fma_f32 v30, v14, s17, -v29
	v_fmac_f32_e32 v29, 0xbf7ba420, v14
	v_fma_f32 v31, v14, s7, -v13
	v_fmac_f32_e32 v13, 0x3ee437d1, v14
	v_fma_f32 v12, v10, s16, -v11
	v_fmac_f32_e32 v11, 0xbf59a7d5, v10
	v_mul_f32_e32 v14, 0x3f65296c, v9
	v_add_f32_e32 v12, v12, v16
	v_add_f32_e32 v11, v11, v15
	v_fma_f32 v15, v10, s7, -v14
	v_fmac_f32_e32 v14, 0x3ee437d1, v10
	v_mul_f32_e32 v16, 0xbf7ee86f, v9
	v_add_f32_e32 v13, v17, v13
	v_add_f32_e32 v14, v14, v18
	v_fma_f32 v17, v10, s6, -v16
	v_fmac_f32_e32 v16, 0x3dbcf732, v10
	v_mul_f32_e32 v18, 0x3f4c4adb, v9
	v_add_f32_e32 v15, v15, v19
	v_add_f32_e32 v16, v16, v20
	v_fma_f32 v19, v10, s15, -v18
	v_fmac_f32_e32 v18, 0xbf1a4643, v10
	v_mul_f32_e32 v20, 0xbeb8f4ab, v9
	v_add_f32_e32 v17, v17, v21
	v_add_f32_e32 v18, v18, v22
	v_fma_f32 v21, v10, s14, -v20
	v_fmac_f32_e32 v20, 0x3f6eb680, v10
	v_mul_f32_e32 v22, 0xbe3c28d5, v9
	v_sub_f32_e32 v5, v5, v7
	v_add_f32_e32 v19, v19, v24
	v_add_f32_e32 v20, v20, v25
	v_fma_f32 v24, v10, s17, -v22
	v_fmac_f32_e32 v22, 0xbf7ba420, v10
	v_mul_f32_e32 v25, 0x3f2c7751, v9
	v_mul_f32_e32 v9, 0xbf763a35, v9
	v_add_f32_e32 v6, v6, v8
	v_mul_f32_e32 v7, 0xbe3c28d5, v5
	v_add_f32_e32 v21, v21, v26
	v_add_f32_e32 v22, v22, v27
	v_fma_f32 v26, v10, s8, -v25
	v_fmac_f32_e32 v25, 0x3f3d2fb0, v10
	v_fma_f32 v27, v10, s9, -v9
	v_fmac_f32_e32 v9, 0xbe8c1d8e, v10
	v_fma_f32 v8, v6, s17, -v7
	v_fmac_f32_e32 v7, 0xbf7ba420, v6
	v_mul_f32_e32 v10, 0x3eb8f4ab, v5
	v_add_f32_e32 v8, v8, v12
	v_add_f32_e32 v7, v7, v11
	v_fma_f32 v11, v6, s14, -v10
	v_fmac_f32_e32 v10, 0x3f6eb680, v6
	v_mul_f32_e32 v12, 0xbf06c442, v5
	v_add_f32_e32 v87, v91, v87
	v_add_f32_e32 v89, v93, v89
	v_add_f32_e32 v88, v92, v88
	v_add_f32_e32 v90, v94, v90
	v_add_f32_e32 v9, v9, v13
	v_add_f32_e32 v10, v10, v14
	v_fma_f32 v13, v6, s16, -v12
	v_fmac_f32_e32 v12, 0xbf59a7d5, v6
	v_mul_f32_e32 v14, 0x3f2c7751, v5
	v_add_f32_e32 v82, v87, v82
	v_add_f32_e32 v85, v89, v85
	v_add_f32_e32 v84, v88, v84
	v_add_f32_e32 v86, v90, v86
	v_add_f32_e32 v11, v11, v15
	;; [unrolled: 9-line block ×4, first 2 shown]
	v_add_f32_e32 v16, v16, v20
	v_fma_f32 v19, v6, s7, -v18
	v_fmac_f32_e32 v18, 0x3ee437d1, v6
	v_mul_f32_e32 v20, 0xbf763a35, v5
	v_mul_f32_e32 v5, 0x3f7ee86f, v5
	v_add_f32_e32 v28, v32, v28
	v_add_f32_e32 v30, v34, v30
	;; [unrolled: 1-line block ×5, first 2 shown]
	v_fma_f32 v22, v6, s6, -v5
	s_movk_i32 s6, 0x44
	v_add_f32_e32 v24, v24, v28
	v_add_f32_e32 v26, v26, v30
	;; [unrolled: 1-line block ×5, first 2 shown]
	v_fma_f32 v21, v6, s9, -v20
	v_fmac_f32_e32 v20, 0xbe8c1d8e, v6
	v_fmac_f32_e32 v5, 0x3dbcf732, v6
	v_mad_u32_u24 v6, v71, s6, 0
	v_add_f32_e32 v19, v19, v24
	v_add_f32_e32 v21, v21, v26
	;; [unrolled: 1-line block ×5, first 2 shown]
	ds_write2_b32 v6, v23, v8 offset1:1
	ds_write2_b32 v6, v11, v13 offset0:2 offset1:3
	ds_write2_b32 v6, v15, v17 offset0:4 offset1:5
	ds_write2_b32 v6, v19, v21 offset0:6 offset1:7
	ds_write2_b32 v6, v22, v5 offset0:8 offset1:9
	ds_write2_b32 v6, v20, v18 offset0:10 offset1:11
	ds_write2_b32 v6, v16, v14 offset0:12 offset1:13
	ds_write2_b32 v6, v12, v10 offset0:14 offset1:15
	ds_write_b32 v6, v7 offset:64
.LBB0_19:
	s_or_b64 exec, exec, s[4:5]
	s_movk_i32 s4, 0xf1
	v_mul_lo_u16_sdwa v5, v79, s4 dst_sel:DWORD dst_unused:UNUSED_PAD src0_sel:BYTE_0 src1_sel:DWORD
	v_lshrrev_b16_e32 v42, 12, v5
	v_mul_lo_u16_e32 v5, 17, v42
	v_sub_u16_e32 v100, v79, v5
	v_mov_b32_e32 v5, 4
	v_mul_lo_u16_sdwa v7, v71, s4 dst_sel:DWORD dst_unused:UNUSED_PAD src0_sel:BYTE_0 src1_sel:DWORD
	v_lshlrev_b32_sdwa v6, v5, v100 dst_sel:DWORD dst_unused:UNUSED_PAD src0_sel:DWORD src1_sel:BYTE_0
	v_lshrrev_b16_e32 v101, 12, v7
	s_waitcnt lgkmcnt(0)
	; wave barrier
	s_waitcnt lgkmcnt(0)
	global_load_dwordx4 v[9:12], v6, s[12:13]
	v_mul_lo_u16_e32 v6, 17, v101
	v_sub_u16_e32 v102, v71, v6
	v_lshlrev_b32_sdwa v6, v5, v102 dst_sel:DWORD dst_unused:UNUSED_PAD src0_sel:DWORD src1_sel:BYTE_0
	global_load_dwordx4 v[21:24], v6, s[12:13]
	v_add_u32_e32 v74, 0x66, v79
	v_mul_lo_u16_sdwa v6, v74, s4 dst_sel:DWORD dst_unused:UNUSED_PAD src0_sel:BYTE_0 src1_sel:DWORD
	v_lshrrev_b16_e32 v103, 12, v6
	v_mul_lo_u16_e32 v6, 17, v103
	v_sub_u16_e32 v104, v74, v6
	v_lshlrev_b32_sdwa v6, v5, v104 dst_sel:DWORD dst_unused:UNUSED_PAD src0_sel:DWORD src1_sel:BYTE_0
	v_add_u32_e32 v82, 0x99, v79
	global_load_dwordx4 v[25:28], v6, s[12:13]
	v_mul_lo_u16_sdwa v6, v82, s4 dst_sel:DWORD dst_unused:UNUSED_PAD src0_sel:BYTE_0 src1_sel:DWORD
	v_lshrrev_b16_e32 v105, 12, v6
	v_mul_lo_u16_e32 v6, 17, v105
	v_sub_u16_e32 v106, v82, v6
	v_lshlrev_b32_sdwa v6, v5, v106 dst_sel:DWORD dst_unused:UNUSED_PAD src0_sel:DWORD src1_sel:BYTE_0
	v_add_u32_e32 v41, 0xcc, v79
	global_load_dwordx4 v[29:32], v6, s[12:13]
	v_mul_lo_u16_sdwa v6, v41, s4 dst_sel:DWORD dst_unused:UNUSED_PAD src0_sel:BYTE_0 src1_sel:DWORD
	v_lshrrev_b16_e32 v107, 12, v6
	v_mul_lo_u16_e32 v6, 17, v107
	v_sub_u16_e32 v108, v41, v6
	v_add_u32_e32 v19, 0xff, v79
	v_lshlrev_b32_sdwa v5, v5, v108 dst_sel:DWORD dst_unused:UNUSED_PAD src0_sel:DWORD src1_sel:BYTE_0
	s_mov_b32 s4, 0xf0f1
	global_load_dwordx4 v[33:36], v5, s[12:13]
	v_mul_u32_u24_sdwa v17, v19, s4 dst_sel:DWORD dst_unused:UNUSED_PAD src0_sel:WORD_0 src1_sel:DWORD
	v_lshrrev_b32_e32 v109, 20, v17
	v_mul_lo_u16_e32 v17, 17, v109
	v_sub_u16_e32 v110, v19, v17
	v_lshlrev_b32_e32 v17, 4, v110
	v_add_u32_e32 v20, 0x132, v79
	ds_read2_b32 v[7:8], v72 offset0:126 offset1:177
	ds_read2_b32 v[5:6], v78 offset0:98 offset1:149
	global_load_dwordx4 v[84:87], v17, s[12:13]
	v_mul_u32_u24_sdwa v88, v20, s4 dst_sel:DWORD dst_unused:UNUSED_PAD src0_sel:WORD_0 src1_sel:DWORD
	v_lshrrev_b32_e32 v111, 20, v88
	v_mul_lo_u16_e32 v88, 17, v111
	v_add_u32_e32 v13, 0x165, v79
	v_sub_u16_e32 v112, v20, v88
	v_mul_u32_u24_sdwa v92, v13, s4 dst_sel:DWORD dst_unused:UNUSED_PAD src0_sel:WORD_0 src1_sel:DWORD
	v_lshlrev_b32_e32 v88, 4, v112
	v_add_u32_e32 v14, 0x198, v79
	global_load_dwordx4 v[88:91], v88, s[12:13]
	v_lshrrev_b32_e32 v113, 20, v92
	v_mul_u32_u24_sdwa v93, v14, s4 dst_sel:DWORD dst_unused:UNUSED_PAD src0_sel:WORD_0 src1_sel:DWORD
	v_mul_lo_u16_e32 v92, 17, v113
	v_add_u32_e32 v15, 0x1cb, v79
	v_lshrrev_b32_e32 v114, 20, v93
	v_sub_u16_e32 v117, v13, v92
	v_mul_u32_u24_sdwa v94, v15, s4 dst_sel:DWORD dst_unused:UNUSED_PAD src0_sel:WORD_0 src1_sel:DWORD
	v_mul_lo_u16_e32 v93, 17, v114
	v_lshlrev_b32_e32 v92, 4, v117
	v_lshrrev_b32_e32 v115, 20, v94
	v_sub_u16_e32 v118, v14, v93
	global_load_dwordx4 v[92:95], v92, s[12:13]
	v_mul_lo_u16_e32 v116, 17, v115
	v_lshlrev_b32_e32 v96, 4, v118
	global_load_dwordx4 v[96:99], v96, s[12:13]
	v_add_u32_e32 v16, 0x1fe, v79
	s_mov_b32 s6, 0x3f575c64
	s_mov_b32 s5, 0xbe11bafb
	;; [unrolled: 1-line block ×4, first 2 shown]
	s_waitcnt vmcnt(8) lgkmcnt(0)
	v_mul_f32_e32 v120, v5, v12
	v_mul_f32_e32 v12, v69, v12
	v_fmac_f32_e32 v120, v69, v11
	v_sub_u16_e32 v69, v15, v116
	v_mul_f32_e32 v119, v8, v10
	v_mul_f32_e32 v10, v38, v10
	v_fma_f32 v12, v5, v11, -v12
	v_lshlrev_b32_e32 v5, 4, v69
	s_waitcnt vmcnt(7)
	v_mul_f32_e32 v122, v6, v24
	v_fmac_f32_e32 v119, v38, v9
	v_fma_f32 v38, v8, v9, -v10
	global_load_dwordx4 v[8:11], v5, s[12:13]
	ds_read2_b32 v[17:18], v73 offset0:100 offset1:151
	v_mul_f32_e32 v5, v70, v24
	v_fmac_f32_e32 v122, v70, v23
	v_fma_f32 v70, v6, v23, -v5
	v_mul_u32_u24_sdwa v5, v16, s4 dst_sel:DWORD dst_unused:UNUSED_PAD src0_sel:WORD_0 src1_sel:DWORD
	v_lshrrev_b32_e32 v116, 20, v5
	v_mul_lo_u16_e32 v5, 17, v116
	v_sub_u16_e32 v123, v16, v5
	s_waitcnt lgkmcnt(0)
	v_mul_f32_e32 v121, v17, v22
	v_mul_f32_e32 v22, v67, v22
	v_lshlrev_b32_e32 v5, 4, v123
	v_fmac_f32_e32 v121, v67, v21
	v_fma_f32 v67, v17, v21, -v22
	global_load_dwordx4 v[21:24], v5, s[12:13]
	ds_read2_b32 v[5:6], v78 offset0:200 offset1:251
	s_waitcnt vmcnt(8)
	v_mul_f32_e32 v124, v18, v26
	v_mul_f32_e32 v17, v68, v26
	v_fmac_f32_e32 v124, v68, v25
	v_fma_f32 v68, v18, v25, -v17
	s_waitcnt lgkmcnt(0)
	v_mul_f32_e32 v125, v5, v28
	v_mul_f32_e32 v17, v65, v28
	v_fmac_f32_e32 v125, v65, v27
	v_fma_f32 v65, v5, v27, -v17
	ds_read2_b32 v[17:18], v73 offset0:202 offset1:253
	ds_read2_b32 v[25:26], v0 offset1:51
	s_waitcnt vmcnt(7)
	v_mul_f32_e32 v126, v6, v32
	v_mul_f32_e32 v5, v66, v32
	v_fmac_f32_e32 v126, v66, v31
	s_waitcnt lgkmcnt(1)
	v_mul_f32_e32 v66, v17, v30
	v_fma_f32 v127, v6, v31, -v5
	v_mul_f32_e32 v5, v63, v30
	v_fmac_f32_e32 v66, v63, v29
	v_fma_f32 v63, v17, v29, -v5
	ds_read2_b32 v[27:28], v0 offset0:102 offset1:153
	ds_read2_b32 v[5:6], v80 offset0:46 offset1:97
	s_waitcnt vmcnt(6)
	v_mul_f32_e32 v128, v18, v34
	v_mul_f32_e32 v17, v64, v34
	v_fmac_f32_e32 v128, v64, v33
	v_fma_f32 v64, v18, v33, -v17
	s_waitcnt lgkmcnt(0)
	v_mul_f32_e32 v129, v5, v36
	v_mul_f32_e32 v17, v61, v36
	v_fmac_f32_e32 v129, v61, v35
	v_fma_f32 v61, v5, v35, -v17
	ds_read2_b32 v[17:18], v75 offset0:48 offset1:99
	ds_read2_b32 v[29:30], v0 offset0:204 offset1:255
	s_waitcnt vmcnt(5)
	v_mul_f32_e32 v130, v6, v87
	v_mul_f32_e32 v5, v62, v87
	v_fmac_f32_e32 v130, v62, v86
	s_waitcnt lgkmcnt(1)
	v_mul_f32_e32 v62, v17, v85
	v_fma_f32 v86, v6, v86, -v5
	v_mul_f32_e32 v5, v59, v85
	v_fmac_f32_e32 v62, v59, v84
	v_fma_f32 v59, v17, v84, -v5
	ds_read2_b32 v[31:32], v76 offset0:50 offset1:101
	ds_read2_b32 v[5:6], v80 offset0:148 offset1:199
	s_waitcnt vmcnt(4)
	v_mul_f32_e32 v84, v18, v89
	v_mul_f32_e32 v17, v60, v89
	v_fmac_f32_e32 v84, v60, v88
	v_fma_f32 v60, v18, v88, -v17
	s_waitcnt lgkmcnt(0)
	v_mul_f32_e32 v85, v5, v91
	v_mul_f32_e32 v17, v57, v91
	v_fmac_f32_e32 v85, v57, v90
	v_fma_f32 v57, v5, v90, -v17
	ds_read2_b32 v[17:18], v75 offset0:150 offset1:201
	ds_read2_b32 v[33:34], v76 offset0:152 offset1:203
	s_waitcnt vmcnt(3)
	v_mul_f32_e32 v5, v58, v95
	v_mul_f32_e32 v87, v6, v95
	v_fma_f32 v88, v6, v94, -v5
	v_mul_f32_e32 v5, v55, v93
	v_fmac_f32_e32 v87, v58, v94
	s_waitcnt lgkmcnt(1)
	v_mul_f32_e32 v58, v17, v93
	v_fma_f32 v17, v17, v92, -v5
	ds_read2_b32 v[5:6], v81 offset0:122 offset1:173
	ds_read2_b32 v[35:36], v77 offset0:124 offset1:175
	v_fmac_f32_e32 v58, v55, v92
	s_waitcnt vmcnt(2)
	v_mul_f32_e32 v55, v18, v97
	v_fmac_f32_e32 v55, v56, v96
	v_mul_f32_e32 v56, v56, v97
	ds_read_b32 v89, v0 offset:6528
	v_fma_f32 v18, v18, v96, -v56
	s_waitcnt lgkmcnt(2)
	v_mul_f32_e32 v56, v5, v99
	v_fmac_f32_e32 v56, v53, v98
	v_mul_f32_e32 v53, v53, v99
	v_fma_f32 v5, v5, v98, -v53
	s_waitcnt vmcnt(1) lgkmcnt(0)
	v_mul_f32_e32 v53, v35, v9
	v_mul_f32_e32 v9, v51, v9
	v_fmac_f32_e32 v53, v51, v8
	v_fma_f32 v8, v35, v8, -v9
	v_mul_f32_e32 v9, v6, v11
	v_mul_f32_e32 v11, v54, v11
	v_fmac_f32_e32 v9, v54, v10
	v_fma_f32 v6, v6, v10, -v11
	v_sub_f32_e32 v35, v38, v12
	; wave barrier
	s_movk_i32 s4, 0xa1
	s_waitcnt vmcnt(0)
	v_mul_f32_e32 v10, v36, v22
	v_mul_f32_e32 v11, v52, v22
	v_fmac_f32_e32 v10, v52, v21
	v_fma_f32 v11, v36, v21, -v11
	v_mul_f32_e32 v21, v89, v24
	v_mul_f32_e32 v22, v83, v24
	v_add_f32_e32 v24, v119, v120
	v_fma_f32 v24, -0.5, v24, v49
	v_mov_b32_e32 v36, v24
	v_fmac_f32_e32 v36, 0xbf5db3d7, v35
	v_fmac_f32_e32 v24, 0x3f5db3d7, v35
	v_add_f32_e32 v35, v25, v38
	v_add_f32_e32 v35, v35, v12
	;; [unrolled: 1-line block ×3, first 2 shown]
	v_fma_f32 v12, -0.5, v12, v25
	v_fmac_f32_e32 v21, v83, v23
	v_fma_f32 v22, v89, v23, -v22
	v_add_f32_e32 v23, v49, v119
	v_sub_f32_e32 v25, v119, v120
	v_mov_b32_e32 v38, v12
	v_add_f32_e32 v49, v121, v122
	v_fmac_f32_e32 v38, 0x3f5db3d7, v25
	v_fmac_f32_e32 v12, 0xbf5db3d7, v25
	v_add_f32_e32 v25, v50, v121
	v_fmac_f32_e32 v50, -0.5, v49
	v_sub_f32_e32 v49, v67, v70
	v_mov_b32_e32 v51, v50
	v_add_f32_e32 v52, v67, v70
	v_fmac_f32_e32 v51, 0xbf5db3d7, v49
	v_fmac_f32_e32 v50, 0x3f5db3d7, v49
	v_add_f32_e32 v49, v26, v67
	v_fmac_f32_e32 v26, -0.5, v52
	v_sub_f32_e32 v52, v121, v122
	v_mov_b32_e32 v54, v26
	v_add_f32_e32 v67, v124, v125
	v_fmac_f32_e32 v54, 0x3f5db3d7, v52
	v_fmac_f32_e32 v26, 0xbf5db3d7, v52
	v_add_f32_e32 v52, v47, v124
	v_fma_f32 v47, -0.5, v67, v47
	v_add_f32_e32 v49, v49, v70
	v_sub_f32_e32 v67, v68, v65
	v_mov_b32_e32 v70, v47
	v_fmac_f32_e32 v70, 0xbf5db3d7, v67
	v_fmac_f32_e32 v47, 0x3f5db3d7, v67
	v_add_f32_e32 v67, v27, v68
	v_add_f32_e32 v83, v67, v65
	v_add_f32_e32 v65, v68, v65
	v_fma_f32 v27, -0.5, v65, v27
	v_sub_f32_e32 v65, v124, v125
	v_mov_b32_e32 v89, v27
	v_add_f32_e32 v67, v66, v126
	v_fmac_f32_e32 v89, 0x3f5db3d7, v65
	v_fmac_f32_e32 v27, 0xbf5db3d7, v65
	v_add_f32_e32 v65, v48, v66
	v_fmac_f32_e32 v48, -0.5, v67
	v_sub_f32_e32 v67, v63, v127
	v_mov_b32_e32 v68, v48
	v_fmac_f32_e32 v68, 0xbf5db3d7, v67
	v_fmac_f32_e32 v48, 0x3f5db3d7, v67
	v_add_f32_e32 v67, v28, v63
	v_add_f32_e32 v63, v63, v127
	v_fmac_f32_e32 v28, -0.5, v63
	v_add_f32_e32 v90, v67, v127
	v_sub_f32_e32 v63, v66, v126
	v_mov_b32_e32 v66, v28
	v_add_f32_e32 v67, v128, v129
	v_fmac_f32_e32 v66, 0x3f5db3d7, v63
	v_fmac_f32_e32 v28, 0xbf5db3d7, v63
	v_add_f32_e32 v63, v45, v128
	v_fma_f32 v45, -0.5, v67, v45
	v_sub_f32_e32 v67, v64, v61
	v_mov_b32_e32 v91, v45
	v_fmac_f32_e32 v91, 0xbf5db3d7, v67
	v_fmac_f32_e32 v45, 0x3f5db3d7, v67
	v_add_f32_e32 v67, v29, v64
	v_add_f32_e32 v92, v67, v61
	;; [unrolled: 1-line block ×3, first 2 shown]
	v_fma_f32 v29, -0.5, v61, v29
	v_sub_f32_e32 v61, v128, v129
	v_mov_b32_e32 v119, v29
	v_add_f32_e32 v64, v62, v130
	v_fmac_f32_e32 v119, 0x3f5db3d7, v61
	v_fmac_f32_e32 v29, 0xbf5db3d7, v61
	v_add_f32_e32 v61, v46, v62
	v_fmac_f32_e32 v46, -0.5, v64
	v_sub_f32_e32 v64, v59, v86
	v_mov_b32_e32 v67, v46
	v_fmac_f32_e32 v67, 0xbf5db3d7, v64
	v_fmac_f32_e32 v46, 0x3f5db3d7, v64
	v_add_f32_e32 v64, v30, v59
	v_add_f32_e32 v59, v59, v86
	v_fmac_f32_e32 v30, -0.5, v59
	v_add_f32_e32 v23, v23, v120
	v_add_f32_e32 v120, v64, v86
	v_sub_f32_e32 v59, v62, v130
	v_mov_b32_e32 v86, v30
	v_add_f32_e32 v62, v84, v85
	v_fmac_f32_e32 v86, 0x3f5db3d7, v59
	v_fmac_f32_e32 v30, 0xbf5db3d7, v59
	v_add_f32_e32 v59, v43, v84
	v_fma_f32 v43, -0.5, v62, v43
	v_sub_f32_e32 v62, v60, v57
	v_mov_b32_e32 v64, v43
	v_fmac_f32_e32 v64, 0xbf5db3d7, v62
	v_fmac_f32_e32 v43, 0x3f5db3d7, v62
	v_add_f32_e32 v62, v31, v60
	v_add_f32_e32 v121, v62, v57
	;; [unrolled: 1-line block ×3, first 2 shown]
	v_fma_f32 v31, -0.5, v57, v31
	v_sub_f32_e32 v57, v84, v85
	v_mov_b32_e32 v84, v31
	v_add_f32_e32 v60, v58, v87
	v_fmac_f32_e32 v84, 0x3f5db3d7, v57
	v_fmac_f32_e32 v31, 0xbf5db3d7, v57
	v_add_f32_e32 v57, v44, v58
	v_fmac_f32_e32 v44, -0.5, v60
	v_sub_f32_e32 v60, v17, v88
	v_mov_b32_e32 v62, v44
	v_fmac_f32_e32 v62, 0xbf5db3d7, v60
	v_fmac_f32_e32 v44, 0x3f5db3d7, v60
	v_add_f32_e32 v60, v32, v17
	v_add_f32_e32 v17, v17, v88
	v_fmac_f32_e32 v32, -0.5, v17
	v_add_f32_e32 v57, v57, v87
	v_sub_f32_e32 v17, v58, v87
	v_mov_b32_e32 v87, v32
	v_add_f32_e32 v58, v55, v56
	v_fmac_f32_e32 v87, 0x3f5db3d7, v17
	v_fmac_f32_e32 v32, 0xbf5db3d7, v17
	v_add_f32_e32 v17, v39, v55
	v_fma_f32 v39, -0.5, v58, v39
	v_add_f32_e32 v59, v59, v85
	v_add_f32_e32 v85, v60, v88
	v_sub_f32_e32 v58, v18, v5
	v_mov_b32_e32 v60, v39
	v_fmac_f32_e32 v60, 0xbf5db3d7, v58
	v_fmac_f32_e32 v39, 0x3f5db3d7, v58
	v_add_f32_e32 v58, v33, v18
	v_add_f32_e32 v88, v58, v5
	;; [unrolled: 1-line block ×3, first 2 shown]
	v_fma_f32 v18, -0.5, v5, v33
	v_sub_f32_e32 v5, v55, v56
	v_mov_b32_e32 v33, v18
	v_add_f32_e32 v55, v53, v9
	v_fmac_f32_e32 v33, 0x3f5db3d7, v5
	v_fmac_f32_e32 v18, 0xbf5db3d7, v5
	v_add_f32_e32 v5, v40, v53
	v_fmac_f32_e32 v40, -0.5, v55
	v_add_f32_e32 v17, v17, v56
	v_sub_f32_e32 v55, v8, v6
	v_mov_b32_e32 v56, v40
	v_fmac_f32_e32 v56, 0xbf5db3d7, v55
	v_fmac_f32_e32 v40, 0x3f5db3d7, v55
	v_add_f32_e32 v55, v34, v8
	v_add_f32_e32 v55, v55, v6
	;; [unrolled: 1-line block ×3, first 2 shown]
	v_fmac_f32_e32 v34, -0.5, v6
	v_add_f32_e32 v5, v5, v9
	v_sub_f32_e32 v6, v53, v9
	v_mov_b32_e32 v8, v34
	v_add_f32_e32 v9, v10, v21
	v_fmac_f32_e32 v8, 0x3f5db3d7, v6
	v_fmac_f32_e32 v34, 0xbf5db3d7, v6
	v_add_f32_e32 v6, v37, v10
	v_fmac_f32_e32 v37, -0.5, v9
	v_sub_f32_e32 v9, v11, v22
	v_mov_b32_e32 v53, v37
	v_fmac_f32_e32 v53, 0xbf5db3d7, v9
	v_fmac_f32_e32 v37, 0x3f5db3d7, v9
	v_add_f32_e32 v9, v7, v11
	v_add_f32_e32 v25, v25, v122
	;; [unrolled: 1-line block ×4, first 2 shown]
	v_fmac_f32_e32 v7, -0.5, v9
	v_sub_f32_e32 v9, v10, v21
	v_mov_b32_e32 v11, v7
	v_mov_b32_e32 v10, 2
	v_add_f32_e32 v6, v6, v21
	v_fmac_f32_e32 v11, 0x3f5db3d7, v9
	v_fmac_f32_e32 v7, 0xbf5db3d7, v9
	v_mul_u32_u24_e32 v9, 0xcc, v42
	v_lshlrev_b32_sdwa v21, v10, v100 dst_sel:DWORD dst_unused:UNUSED_PAD src0_sel:DWORD src1_sel:BYTE_0
	v_add3_u32 v21, 0, v9, v21
	v_mul_u32_u24_e32 v9, 0xcc, v101
	v_lshlrev_b32_sdwa v22, v10, v102 dst_sel:DWORD dst_unused:UNUSED_PAD src0_sel:DWORD src1_sel:BYTE_0
	ds_write2_b32 v21, v23, v36 offset1:17
	ds_write_b32 v21, v24 offset:136
	v_add3_u32 v22, 0, v9, v22
	v_mul_u32_u24_e32 v9, 0xcc, v103
	v_lshlrev_b32_sdwa v23, v10, v104 dst_sel:DWORD dst_unused:UNUSED_PAD src0_sel:DWORD src1_sel:BYTE_0
	v_add3_u32 v23, 0, v9, v23
	v_mul_u32_u24_e32 v9, 0xcc, v105
	v_lshlrev_b32_sdwa v24, v10, v106 dst_sel:DWORD dst_unused:UNUSED_PAD src0_sel:DWORD src1_sel:BYTE_0
	;; [unrolled: 3-line block ×3, first 2 shown]
	ds_write2_b32 v22, v25, v51 offset1:17
	ds_write_b32 v22, v50 offset:136
	v_add3_u32 v25, 0, v9, v10
	v_mul_u32_u24_e32 v9, 0xcc, v109
	v_lshlrev_b32_e32 v10, 2, v110
	v_add3_u32 v36, 0, v9, v10
	v_mul_u32_u24_e32 v9, 0xcc, v111
	v_lshlrev_b32_e32 v10, 2, v112
	v_add_f32_e32 v52, v52, v125
	v_add_f32_e32 v65, v65, v126
	;; [unrolled: 1-line block ×4, first 2 shown]
	v_add3_u32 v42, 0, v9, v10
	v_mul_u32_u24_e32 v9, 0xcc, v113
	v_lshlrev_b32_e32 v10, 2, v117
	ds_write2_b32 v23, v52, v70 offset1:17
	ds_write_b32 v23, v47 offset:136
	ds_write2_b32 v24, v65, v68 offset1:17
	ds_write_b32 v24, v48 offset:136
	;; [unrolled: 2-line block ×5, first 2 shown]
	v_add3_u32 v43, 0, v9, v10
	v_mul_u32_u24_e32 v9, 0xcc, v114
	v_lshlrev_b32_e32 v10, 2, v118
	ds_write2_b32 v43, v57, v62 offset1:17
	ds_write_b32 v43, v44 offset:136
	v_add3_u32 v44, 0, v9, v10
	v_mul_u32_u24_e32 v9, 0xcc, v115
	v_lshlrev_b32_e32 v10, 2, v69
	ds_write2_b32 v44, v17, v60 offset1:17
	ds_write_b32 v44, v39 offset:136
	v_add3_u32 v17, 0, v9, v10
	ds_write2_b32 v17, v5, v56 offset1:17
	ds_write_b32 v17, v40 offset:136
	v_mul_u32_u24_e32 v5, 0xcc, v116
	v_lshlrev_b32_e32 v9, 2, v123
	v_add3_u32 v45, 0, v5, v9
	ds_write2_b32 v45, v6, v53 offset1:17
	ds_write_b32 v45, v37 offset:136
	s_waitcnt lgkmcnt(0)
	; wave barrier
	s_waitcnt lgkmcnt(0)
	ds_read2_b32 v[9:10], v0 offset1:51
	ds_read2_b32 v[5:6], v0 offset0:102 offset1:153
	ds_read2_b32 v[39:40], v76 offset0:50 offset1:101
	ds_read2_b32 v[58:59], v76 offset0:152 offset1:203
	ds_read2_b32 v[60:61], v73 offset0:100 offset1:151
	ds_read2_b32 v[93:94], v73 offset0:202 offset1:253
	ds_read2_b32 v[62:63], v75 offset0:150 offset1:201
	ds_read2_b32 v[95:96], v77 offset0:124 offset1:175
	ds_read2_b32 v[67:68], v78 offset0:200 offset1:251
	ds_read2_b32 v[97:98], v80 offset0:46 offset1:97
	ds_read2_b32 v[99:100], v81 offset0:122 offset1:173
	ds_read2_b32 v[64:65], v0 offset0:204 offset1:255
	ds_read2_b32 v[101:102], v72 offset0:126 offset1:177
	ds_read2_b32 v[103:104], v75 offset0:48 offset1:99
	ds_read2_b32 v[105:106], v78 offset0:98 offset1:149
	ds_read2_b32 v[107:108], v80 offset0:148 offset1:199
	ds_read_b32 v129, v0 offset:6528
	s_waitcnt lgkmcnt(0)
	; wave barrier
	s_waitcnt lgkmcnt(0)
	ds_write2_b32 v21, v35, v38 offset1:17
	ds_write_b32 v21, v12 offset:136
	ds_write2_b32 v22, v49, v54 offset1:17
	ds_write_b32 v22, v26 offset:136
	;; [unrolled: 2-line block ×11, first 2 shown]
	v_mul_u32_u24_e32 v7, 10, v79
	v_lshlrev_b32_e32 v7, 3, v7
	s_waitcnt lgkmcnt(0)
	; wave barrier
	s_waitcnt lgkmcnt(0)
	global_load_dwordx4 v[21:24], v7, s[12:13] offset:272
	global_load_dwordx4 v[30:33], v7, s[12:13] offset:288
	v_mul_lo_u16_sdwa v8, v74, s4 dst_sel:DWORD dst_unused:UNUSED_PAD src0_sel:BYTE_0 src1_sel:DWORD
	v_lshrrev_b16_e32 v8, 13, v8
	v_mul_lo_u16_e32 v8, 51, v8
	v_sub_u16_e32 v8, v74, v8
	v_and_b32_e32 v17, 0xff, v8
	v_mul_u32_u24_e32 v8, 10, v17
	v_lshlrev_b32_e32 v18, 3, v8
	global_load_dwordx4 v[35:38], v18, s[12:13] offset:272
	global_load_dwordx4 v[42:45], v7, s[12:13] offset:304
	;; [unrolled: 1-line block ×4, first 2 shown]
	ds_read2_b32 v[11:12], v0 offset1:51
	ds_read2_b32 v[7:8], v0 offset0:102 offset1:153
	ds_read2_b32 v[27:28], v76 offset0:50 offset1:101
	;; [unrolled: 1-line block ×15, first 2 shown]
	ds_read_b32 v130, v0 offset:6528
	s_mov_b32 s4, 0x3ed4b147
	s_waitcnt vmcnt(5) lgkmcnt(14)
	v_mul_f32_e32 v131, v8, v22
	v_fmac_f32_e32 v131, v6, v21
	v_mul_f32_e32 v6, v6, v22
	v_fma_f32 v132, v8, v21, -v6
	v_mul_f32_e32 v6, v39, v24
	v_mul_f32_e32 v133, v27, v24
	v_fma_f32 v134, v27, v23, -v6
	v_mul_f32_e32 v83, v28, v24
	v_mul_f32_e32 v6, v40, v24
	global_load_dwordx4 v[54:57], v18, s[12:13] offset:304
	global_load_dwordx4 v[24:27], v18, s[12:13] offset:288
	s_waitcnt vmcnt(5) lgkmcnt(5)
	v_mul_f32_e32 v34, v89, v36
	v_mul_f32_e32 v8, v65, v36
	v_fmac_f32_e32 v34, v65, v35
	v_fma_f32 v35, v89, v35, -v8
	global_load_dwordx4 v[89:92], v18, s[12:13] offset:320
	v_fma_f32 v84, v28, v23, -v6
	v_mul_f32_e32 v28, v69, v38
	v_mul_f32_e32 v8, v58, v38
	v_fmac_f32_e32 v133, v39, v23
	v_fmac_f32_e32 v83, v40, v23
	;; [unrolled: 1-line block ×3, first 2 shown]
	v_fma_f32 v29, v69, v37, -v8
	global_load_dwordx4 v[37:40], v18, s[12:13] offset:336
	v_mul_f32_e32 v6, v64, v22
	v_mul_f32_e32 v87, v88, v22
	v_fma_f32 v88, v88, v21, -v6
	v_mul_f32_e32 v135, v70, v31
	v_mul_f32_e32 v6, v59, v31
	v_fmac_f32_e32 v135, v59, v30
	v_fma_f32 v59, v70, v30, -v6
	v_mul_f32_e32 v6, v60, v33
	v_fma_f32 v136, v85, v32, -v6
	v_mul_f32_e32 v6, v61, v33
	v_fmac_f32_e32 v87, v64, v21
	v_mul_f32_e32 v64, v86, v33
	v_fma_f32 v66, v86, v32, -v6
	v_mul_f32_e32 v6, v101, v31
	v_fmac_f32_e32 v64, v61, v32
	s_waitcnt vmcnt(6)
	v_mul_f32_e32 v61, v110, v43
	s_waitcnt lgkmcnt(4)
	v_fma_f32 v70, v121, v30, -v6
	v_mul_f32_e32 v6, v94, v43
	v_fmac_f32_e32 v61, v94, v42
	v_fma_f32 v94, v110, v42, -v6
	v_mul_f32_e32 v6, v62, v45
	v_mul_f32_e32 v65, v85, v33
	;; [unrolled: 1-line block ×3, first 2 shown]
	v_fma_f32 v110, v111, v44, -v6
	v_mul_f32_e32 v6, v63, v45
	v_fmac_f32_e32 v65, v60, v32
	v_fmac_f32_e32 v69, v101, v30
	v_mul_f32_e32 v101, v111, v45
	v_mul_f32_e32 v58, v112, v45
	v_fma_f32 v60, v112, v44, -v6
	v_mul_f32_e32 v6, v103, v43
	v_fmac_f32_e32 v101, v62, v44
	v_fmac_f32_e32 v58, v63, v44
	s_waitcnt lgkmcnt(3)
	v_mul_f32_e32 v62, v123, v43
	v_fma_f32 v63, v123, v42, -v6
	s_waitcnt vmcnt(5)
	v_mul_f32_e32 v6, v96, v47
	v_fmac_f32_e32 v62, v103, v42
	v_fma_f32 v42, v114, v46, -v6
	v_mul_f32_e32 v6, v67, v49
	v_fma_f32 v44, v115, v48, -v6
	v_mul_f32_e32 v6, v68, v49
	v_mul_f32_e32 v43, v115, v49
	;; [unrolled: 1-line block ×3, first 2 shown]
	v_fma_f32 v86, v116, v48, -v6
	v_mul_f32_e32 v6, v105, v47
	v_mul_f32_e32 v45, v114, v47
	v_fmac_f32_e32 v43, v67, v48
	v_fmac_f32_e32 v85, v68, v48
	s_waitcnt lgkmcnt(2)
	v_mul_f32_e32 v67, v125, v47
	v_fma_f32 v68, v125, v46, -v6
	s_waitcnt vmcnt(4)
	v_mul_f32_e32 v6, v98, v51
	v_fmac_f32_e32 v45, v96, v46
	v_mul_f32_e32 v96, v118, v51
	v_fmac_f32_e32 v67, v105, v46
	v_fma_f32 v46, v118, v50, -v6
	v_mul_f32_e32 v6, v99, v53
	v_fmac_f32_e32 v96, v98, v50
	v_fma_f32 v48, v119, v52, -v6
	v_mul_f32_e32 v98, v120, v53
	v_mul_f32_e32 v6, v100, v53
	v_fmac_f32_e32 v98, v100, v52
	v_fma_f32 v100, v120, v52, -v6
	v_mul_f32_e32 v6, v107, v51
	s_waitcnt lgkmcnt(1)
	v_fma_f32 v103, v127, v50, -v6
	v_mul_f32_e32 v47, v119, v53
	v_fmac_f32_e32 v47, v99, v52
	s_waitcnt vmcnt(2)
	v_mul_f32_e32 v6, v102, v25
	v_fma_f32 v31, v122, v24, -v6
	v_mul_f32_e32 v6, v93, v27
	v_mul_f32_e32 v30, v122, v25
	v_fma_f32 v25, v109, v26, -v6
	v_mul_f32_e32 v6, v104, v55
	v_fma_f32 v21, v124, v54, -v6
	v_mul_f32_e32 v6, v95, v57
	v_fma_f32 v23, v113, v56, -v6
	s_waitcnt vmcnt(1)
	v_mul_f32_e32 v6, v106, v90
	v_fmac_f32_e32 v30, v102, v24
	v_mul_f32_e32 v24, v109, v27
	v_fma_f32 v27, v126, v89, -v6
	v_mul_f32_e32 v6, v97, v92
	v_fma_f32 v33, v117, v91, -v6
	s_waitcnt vmcnt(0)
	v_mul_f32_e32 v36, v128, v38
	v_mul_f32_e32 v6, v108, v38
	v_mul_f32_e32 v99, v127, v51
	v_fmac_f32_e32 v36, v108, v37
	v_fma_f32 v37, v128, v37, -v6
	v_mul_f32_e32 v6, v129, v40
	v_fmac_f32_e32 v99, v107, v50
	s_waitcnt lgkmcnt(0)
	v_fma_f32 v50, v130, v39, -v6
	v_add_f32_e32 v6, v9, v131
	v_add_f32_e32 v8, v11, v132
	;; [unrolled: 1-line block ×12, first 2 shown]
	v_mul_f32_e32 v49, v130, v40
	v_add_f32_e32 v6, v6, v45
	v_add_f32_e32 v8, v8, v42
	v_mul_f32_e32 v22, v113, v57
	v_mul_f32_e32 v32, v117, v92
	v_fmac_f32_e32 v49, v129, v39
	v_add_f32_e32 v6, v6, v43
	v_add_f32_e32 v8, v8, v44
	;; [unrolled: 1-line block ×3, first 2 shown]
	v_fmac_f32_e32 v22, v95, v56
	v_fmac_f32_e32 v32, v97, v91
	v_add_f32_e32 v6, v6, v96
	v_add_f32_e32 v38, v8, v46
	v_mul_f32_e32 v52, 0x3f575c64, v39
	v_mul_f32_e32 v56, 0x3ed4b147, v39
	;; [unrolled: 1-line block ×5, first 2 shown]
	v_fmac_f32_e32 v24, v93, v26
	v_mul_f32_e32 v18, v124, v55
	v_mul_f32_e32 v26, v126, v90
	v_add_f32_e32 v8, v6, v47
	v_add_f32_e32 v6, v38, v48
	;; [unrolled: 1-line block ×3, first 2 shown]
	v_sub_f32_e32 v40, v131, v47
	v_sub_f32_e32 v47, v132, v48
	v_mov_b32_e32 v53, v52
	v_mov_b32_e32 v57, v56
	;; [unrolled: 1-line block ×5, first 2 shown]
	v_fmac_f32_e32 v18, v104, v54
	v_fmac_f32_e32 v26, v106, v89
	v_mul_f32_e32 v48, 0xbf0a6770, v47
	v_fmac_f32_e32 v53, 0x3f0a6770, v40
	v_fmac_f32_e32 v52, 0xbf0a6770, v40
	v_mul_f32_e32 v54, 0xbf68dda4, v47
	;; [unrolled: 3-line block ×5, first 2 shown]
	v_fmac_f32_e32 v105, 0x3e903f40, v40
	v_fmac_f32_e32 v39, 0xbe903f40, v40
	v_mov_b32_e32 v51, v48
	v_add_f32_e32 v53, v11, v53
	v_add_f32_e32 v52, v11, v52
	v_mov_b32_e32 v55, v54
	v_add_f32_e32 v57, v11, v57
	v_add_f32_e32 v56, v11, v56
	;; [unrolled: 3-line block ×5, first 2 shown]
	v_add_f32_e32 v39, v134, v46
	v_sub_f32_e32 v46, v134, v46
	v_fmac_f32_e32 v51, 0x3f575c64, v38
	v_fma_f32 v48, v38, s6, -v48
	v_fmac_f32_e32 v55, 0x3ed4b147, v38
	v_fma_f32 v54, v38, s4, -v54
	;; [unrolled: 2-line block ×5, first 2 shown]
	v_mul_f32_e32 v47, 0xbf68dda4, v46
	v_add_f32_e32 v51, v9, v51
	v_add_f32_e32 v48, v9, v48
	;; [unrolled: 1-line block ×11, first 2 shown]
	v_sub_f32_e32 v40, v133, v96
	v_mov_b32_e32 v96, v47
	v_fmac_f32_e32 v96, 0x3ed4b147, v38
	v_add_f32_e32 v51, v96, v51
	v_mul_f32_e32 v96, 0x3ed4b147, v39
	v_mov_b32_e32 v106, v96
	v_fma_f32 v47, v38, s4, -v47
	v_fmac_f32_e32 v96, 0xbf68dda4, v40
	v_add_f32_e32 v47, v47, v48
	v_add_f32_e32 v48, v96, v52
	v_mul_f32_e32 v52, 0xbf4178ce, v46
	v_mov_b32_e32 v96, v52
	v_fmac_f32_e32 v96, 0xbf27a4f4, v38
	v_fmac_f32_e32 v106, 0x3f68dda4, v40
	v_add_f32_e32 v55, v96, v55
	v_mul_f32_e32 v96, 0xbf27a4f4, v39
	v_add_f32_e32 v53, v106, v53
	v_mov_b32_e32 v106, v96
	v_fma_f32 v52, v38, s7, -v52
	v_fmac_f32_e32 v96, 0xbf4178ce, v40
	v_add_f32_e32 v52, v52, v54
	v_add_f32_e32 v54, v96, v56
	v_mul_f32_e32 v56, 0x3e903f40, v46
	v_mov_b32_e32 v96, v56
	v_fmac_f32_e32 v96, 0xbf75a155, v38
	v_fmac_f32_e32 v106, 0x3f4178ce, v40
	v_add_f32_e32 v90, v96, v90
	v_mul_f32_e32 v96, 0xbf75a155, v39
	v_add_f32_e32 v57, v106, v57
	;; [unrolled: 12-line block ×3, first 2 shown]
	v_mov_b32_e32 v106, v96
	v_fma_f32 v91, v38, s5, -v91
	v_fmac_f32_e32 v96, 0x3f7d64f0, v40
	v_mul_f32_e32 v46, 0x3f0a6770, v46
	v_add_f32_e32 v91, v91, v93
	v_add_f32_e32 v93, v96, v97
	v_mov_b32_e32 v96, v46
	v_mul_f32_e32 v39, 0x3f575c64, v39
	v_fmac_f32_e32 v96, 0x3f575c64, v38
	v_mov_b32_e32 v97, v39
	v_fma_f32 v38, v38, s6, -v46
	v_fmac_f32_e32 v106, 0xbf7d64f0, v40
	v_fmac_f32_e32 v97, 0xbf0a6770, v40
	v_add_f32_e32 v9, v38, v9
	v_fmac_f32_e32 v39, 0x3f0a6770, v40
	v_add_f32_e32 v38, v135, v43
	v_sub_f32_e32 v40, v135, v43
	v_sub_f32_e32 v43, v59, v44
	v_add_f32_e32 v11, v39, v11
	v_add_f32_e32 v39, v59, v44
	v_mul_f32_e32 v44, 0xbf7d64f0, v43
	v_mov_b32_e32 v46, v44
	v_fmac_f32_e32 v46, 0xbe11bafb, v38
	v_add_f32_e32 v46, v46, v51
	v_mul_f32_e32 v51, 0xbe11bafb, v39
	v_mov_b32_e32 v59, v51
	v_fma_f32 v44, v38, s5, -v44
	v_fmac_f32_e32 v51, 0xbf7d64f0, v40
	v_add_f32_e32 v44, v44, v47
	v_add_f32_e32 v47, v51, v48
	v_mul_f32_e32 v48, 0x3e903f40, v43
	v_mov_b32_e32 v51, v48
	v_fmac_f32_e32 v51, 0xbf75a155, v38
	v_fmac_f32_e32 v59, 0x3f7d64f0, v40
	v_add_f32_e32 v51, v51, v55
	v_mul_f32_e32 v55, 0xbf75a155, v39
	v_add_f32_e32 v53, v59, v53
	v_mov_b32_e32 v59, v55
	v_fma_f32 v48, v38, s8, -v48
	v_fmac_f32_e32 v55, 0x3e903f40, v40
	v_add_f32_e32 v48, v48, v52
	v_add_f32_e32 v52, v55, v54
	v_mul_f32_e32 v54, 0x3f68dda4, v43
	v_fmac_f32_e32 v59, 0xbe903f40, v40
	v_mov_b32_e32 v55, v54
	v_add_f32_e32 v57, v59, v57
	v_fmac_f32_e32 v55, 0x3ed4b147, v38
	v_mul_f32_e32 v59, 0x3ed4b147, v39
	v_add_f32_e32 v55, v55, v90
	v_mov_b32_e32 v90, v59
	v_fma_f32 v54, v38, s4, -v54
	v_fmac_f32_e32 v59, 0x3f68dda4, v40
	v_add_f32_e32 v54, v54, v56
	v_add_f32_e32 v56, v59, v89
	v_mul_f32_e32 v59, 0xbf0a6770, v43
	v_fmac_f32_e32 v90, 0xbf68dda4, v40
	v_mov_b32_e32 v89, v59
	v_add_f32_e32 v90, v90, v92
	v_fmac_f32_e32 v89, 0x3f575c64, v38
	v_mul_f32_e32 v92, 0x3f575c64, v39
	v_add_f32_e32 v89, v89, v95
	v_mov_b32_e32 v95, v92
	v_fma_f32 v59, v38, s6, -v59
	v_fmac_f32_e32 v92, 0xbf0a6770, v40
	v_mul_f32_e32 v39, 0xbf27a4f4, v39
	v_add_f32_e32 v59, v59, v91
	v_add_f32_e32 v91, v92, v93
	v_mul_f32_e32 v43, 0xbf4178ce, v43
	v_mov_b32_e32 v93, v39
	v_fmac_f32_e32 v39, 0xbf4178ce, v40
	v_mov_b32_e32 v92, v43
	v_add_f32_e32 v11, v39, v11
	v_add_f32_e32 v39, v136, v42
	v_sub_f32_e32 v42, v136, v42
	v_fmac_f32_e32 v92, 0xbf27a4f4, v38
	v_fma_f32 v38, v38, s7, -v43
	v_mul_f32_e32 v43, 0xbf4178ce, v42
	v_fmac_f32_e32 v95, 0x3f0a6770, v40
	v_fmac_f32_e32 v93, 0x3f4178ce, v40
	v_add_f32_e32 v9, v38, v9
	v_add_f32_e32 v38, v65, v45
	v_sub_f32_e32 v40, v65, v45
	v_mov_b32_e32 v45, v43
	v_fmac_f32_e32 v45, 0xbf27a4f4, v38
	v_add_f32_e32 v45, v45, v46
	v_mul_f32_e32 v46, 0xbf27a4f4, v39
	v_mov_b32_e32 v65, v46
	v_fma_f32 v43, v38, s7, -v43
	v_fmac_f32_e32 v46, 0xbf4178ce, v40
	v_add_f32_e32 v43, v43, v44
	v_add_f32_e32 v44, v46, v47
	v_mul_f32_e32 v46, 0x3f7d64f0, v42
	v_mov_b32_e32 v47, v46
	v_fmac_f32_e32 v47, 0xbe11bafb, v38
	v_fmac_f32_e32 v65, 0x3f4178ce, v40
	v_add_f32_e32 v47, v47, v51
	v_mul_f32_e32 v51, 0xbe11bafb, v39
	v_add_f32_e32 v53, v65, v53
	v_mov_b32_e32 v65, v51
	v_fma_f32 v46, v38, s5, -v46
	v_fmac_f32_e32 v51, 0x3f7d64f0, v40
	v_add_f32_e32 v46, v46, v48
	v_add_f32_e32 v48, v51, v52
	v_mul_f32_e32 v51, 0xbf0a6770, v42
	v_mov_b32_e32 v52, v51
	v_fmac_f32_e32 v52, 0x3f575c64, v38
	v_fmac_f32_e32 v65, 0xbf7d64f0, v40
	v_add_f32_e32 v52, v52, v55
	v_mul_f32_e32 v55, 0x3f575c64, v39
	v_add_f32_e32 v57, v65, v57
	;; [unrolled: 12-line block ×3, first 2 shown]
	v_mov_b32_e32 v90, v89
	v_fma_f32 v55, v38, s8, -v55
	v_fmac_f32_e32 v89, 0xbe903f40, v40
	v_mul_f32_e32 v42, 0x3f68dda4, v42
	v_add_f32_e32 v96, v96, v104
	v_add_f32_e32 v55, v55, v59
	;; [unrolled: 1-line block ×3, first 2 shown]
	v_mov_b32_e32 v89, v42
	v_add_f32_e32 v102, v106, v102
	v_add_f32_e32 v92, v92, v96
	v_fmac_f32_e32 v89, 0x3ed4b147, v38
	v_mul_f32_e32 v39, 0x3ed4b147, v39
	v_fma_f32 v38, v38, s4, -v42
	v_add_f32_e32 v96, v94, v110
	v_sub_f32_e32 v94, v94, v110
	v_add_f32_e32 v97, v97, v105
	v_add_f32_e32 v95, v95, v102
	v_fmac_f32_e32 v90, 0x3e903f40, v40
	v_add_f32_e32 v89, v89, v92
	v_mov_b32_e32 v91, v39
	v_add_f32_e32 v92, v38, v9
	v_mul_f32_e32 v38, 0xbe903f40, v94
	v_add_f32_e32 v93, v93, v97
	v_add_f32_e32 v90, v90, v95
	v_fmac_f32_e32 v91, 0xbf68dda4, v40
	v_fmac_f32_e32 v39, 0x3f68dda4, v40
	v_add_f32_e32 v95, v61, v101
	v_mov_b32_e32 v9, v38
	v_add_f32_e32 v91, v91, v93
	v_add_f32_e32 v93, v39, v11
	v_sub_f32_e32 v61, v61, v101
	v_fmac_f32_e32 v9, 0xbf75a155, v95
	v_mul_f32_e32 v39, 0xbf75a155, v96
	v_add_f32_e32 v11, v9, v45
	v_mov_b32_e32 v9, v39
	v_fmac_f32_e32 v39, 0xbe903f40, v61
	v_mul_f32_e32 v40, 0x3f0a6770, v94
	v_add_f32_e32 v42, v39, v44
	v_mov_b32_e32 v39, v40
	v_fma_f32 v40, v95, s6, -v40
	v_add_f32_e32 v40, v40, v46
	v_mul_f32_e32 v46, 0xbf4178ce, v94
	v_mov_b32_e32 v45, v46
	v_fma_f32 v38, v95, s8, -v38
	v_mul_f32_e32 v44, 0x3f575c64, v96
	v_fmac_f32_e32 v45, 0xbf27a4f4, v95
	v_add_f32_e32 v38, v38, v43
	v_mov_b32_e32 v43, v44
	v_fmac_f32_e32 v44, 0x3f0a6770, v61
	v_add_f32_e32 v45, v45, v52
	v_fma_f32 v46, v95, s7, -v46
	v_mul_f32_e32 v52, 0x3f68dda4, v94
	v_fmac_f32_e32 v9, 0x3e903f40, v61
	v_fmac_f32_e32 v39, 0x3f575c64, v95
	v_add_f32_e32 v44, v44, v48
	v_mul_f32_e32 v48, 0xbf27a4f4, v96
	v_add_f32_e32 v46, v46, v51
	v_mov_b32_e32 v51, v52
	v_add_f32_e32 v9, v9, v53
	v_add_f32_e32 v39, v39, v47
	v_mov_b32_e32 v47, v48
	v_fmac_f32_e32 v48, 0xbf4178ce, v61
	v_fmac_f32_e32 v51, 0x3ed4b147, v95
	v_mul_f32_e32 v53, 0x3ed4b147, v96
	v_add_f32_e32 v48, v48, v54
	v_add_f32_e32 v54, v51, v56
	v_mov_b32_e32 v51, v53
	v_fma_f32 v52, v95, s4, -v52
	v_fmac_f32_e32 v53, 0x3f68dda4, v61
	v_mul_f32_e32 v56, 0xbf7d64f0, v94
	v_fmac_f32_e32 v47, 0x3f4178ce, v61
	v_add_f32_e32 v55, v52, v55
	v_add_f32_e32 v52, v53, v59
	v_mov_b32_e32 v53, v56
	v_fmac_f32_e32 v43, 0xbf0a6770, v61
	v_add_f32_e32 v47, v47, v65
	v_fmac_f32_e32 v53, 0xbe11bafb, v95
	v_mul_f32_e32 v65, 0xbe11bafb, v96
	v_add_f32_e32 v43, v43, v57
	v_add_f32_e32 v57, v53, v89
	v_mov_b32_e32 v53, v65
	v_fma_f32 v56, v95, s5, -v56
	v_fmac_f32_e32 v65, 0xbf7d64f0, v61
	v_fmac_f32_e32 v51, 0xbf68dda4, v61
	;; [unrolled: 1-line block ×3, first 2 shown]
	v_add_f32_e32 v59, v56, v92
	v_add_f32_e32 v56, v65, v93
	;; [unrolled: 1-line block ×22, first 2 shown]
	v_sub_f32_e32 v88, v88, v100
	v_add_f32_e32 v53, v53, v91
	v_add_f32_e32 v65, v61, v98
	v_add_f32_e32 v61, v89, v100
	v_mul_f32_e32 v91, 0xbf0a6770, v88
	v_mul_f32_e32 v95, 0xbf68dda4, v88
	;; [unrolled: 1-line block ×5, first 2 shown]
	v_add_f32_e32 v89, v87, v98
	v_mov_b32_e32 v92, v91
	v_mov_b32_e32 v96, v95
	;; [unrolled: 1-line block ×5, first 2 shown]
	v_fmac_f32_e32 v92, 0x3f575c64, v89
	v_mul_f32_e32 v93, 0x3f575c64, v90
	v_fma_f32 v91, v89, s6, -v91
	v_fmac_f32_e32 v96, 0x3ed4b147, v89
	v_mul_f32_e32 v97, 0x3ed4b147, v90
	v_fma_f32 v95, v89, s4, -v95
	;; [unrolled: 3-line block ×5, first 2 shown]
	v_sub_f32_e32 v87, v87, v98
	v_add_f32_e32 v92, v10, v92
	v_mov_b32_e32 v94, v93
	v_add_f32_e32 v91, v10, v91
	v_add_f32_e32 v96, v10, v96
	v_mov_b32_e32 v98, v97
	v_add_f32_e32 v95, v10, v95
	;; [unrolled: 3-line block ×5, first 2 shown]
	v_add_f32_e32 v88, v84, v103
	v_sub_f32_e32 v84, v84, v103
	v_fmac_f32_e32 v94, 0x3f0a6770, v87
	v_fmac_f32_e32 v93, 0xbf0a6770, v87
	;; [unrolled: 1-line block ×10, first 2 shown]
	v_mul_f32_e32 v89, 0xbf68dda4, v84
	v_add_f32_e32 v94, v12, v94
	v_add_f32_e32 v93, v12, v93
	;; [unrolled: 1-line block ×11, first 2 shown]
	v_mov_b32_e32 v90, v89
	v_fmac_f32_e32 v90, 0x3ed4b147, v87
	v_sub_f32_e32 v83, v83, v99
	v_add_f32_e32 v90, v90, v92
	v_mul_f32_e32 v92, 0x3ed4b147, v88
	v_mov_b32_e32 v99, v92
	v_fma_f32 v89, v87, s4, -v89
	v_fmac_f32_e32 v92, 0xbf68dda4, v83
	v_add_f32_e32 v89, v89, v91
	v_add_f32_e32 v91, v92, v93
	v_mul_f32_e32 v92, 0xbf4178ce, v84
	v_mov_b32_e32 v93, v92
	v_fmac_f32_e32 v93, 0xbf27a4f4, v87
	v_fmac_f32_e32 v99, 0x3f68dda4, v83
	v_add_f32_e32 v93, v93, v96
	v_mul_f32_e32 v96, 0xbf27a4f4, v88
	v_add_f32_e32 v94, v99, v94
	v_mov_b32_e32 v99, v96
	v_fma_f32 v92, v87, s7, -v92
	v_fmac_f32_e32 v96, 0xbf4178ce, v83
	v_add_f32_e32 v92, v92, v95
	v_add_f32_e32 v95, v96, v97
	v_mul_f32_e32 v96, 0x3e903f40, v84
	v_fmac_f32_e32 v99, 0x3f4178ce, v83
	v_mov_b32_e32 v97, v96
	v_add_f32_e32 v98, v99, v98
	v_fmac_f32_e32 v97, 0xbf75a155, v87
	v_mul_f32_e32 v99, 0xbf75a155, v88
	v_fma_f32 v96, v87, s8, -v96
	v_add_f32_e32 v97, v97, v101
	v_mov_b32_e32 v101, v99
	v_add_f32_e32 v96, v96, v100
	v_fmac_f32_e32 v99, 0x3e903f40, v83
	v_mul_f32_e32 v100, 0x3f7d64f0, v84
	v_add_f32_e32 v99, v99, v102
	v_mov_b32_e32 v102, v100
	v_fma_f32 v100, v87, s5, -v100
	v_mul_f32_e32 v84, 0x3f0a6770, v84
	v_fmac_f32_e32 v101, 0xbe903f40, v83
	v_fmac_f32_e32 v102, 0xbe11bafb, v87
	v_mul_f32_e32 v103, 0xbe11bafb, v88
	v_add_f32_e32 v100, v100, v105
	v_mov_b32_e32 v105, v84
	v_mul_f32_e32 v88, 0x3f575c64, v88
	v_fma_f32 v84, v87, s6, -v84
	v_add_f32_e32 v101, v101, v104
	v_add_f32_e32 v102, v102, v106
	v_mov_b32_e32 v104, v103
	v_mov_b32_e32 v106, v88
	v_add_f32_e32 v10, v84, v10
	v_add_f32_e32 v84, v70, v86
	v_sub_f32_e32 v70, v70, v86
	v_fmac_f32_e32 v104, 0xbf7d64f0, v83
	v_fmac_f32_e32 v103, 0x3f7d64f0, v83
	;; [unrolled: 1-line block ×4, first 2 shown]
	v_add_f32_e32 v83, v69, v85
	v_sub_f32_e32 v69, v69, v85
	v_mul_f32_e32 v85, 0xbf7d64f0, v70
	v_mov_b32_e32 v86, v85
	v_fma_f32 v85, v83, s5, -v85
	v_fmac_f32_e32 v105, 0x3f575c64, v87
	v_fmac_f32_e32 v86, 0xbe11bafb, v83
	v_mul_f32_e32 v87, 0xbe11bafb, v84
	v_add_f32_e32 v85, v85, v89
	v_mul_f32_e32 v89, 0x3e903f40, v70
	v_add_f32_e32 v12, v88, v12
	v_add_f32_e32 v86, v86, v90
	v_mov_b32_e32 v88, v87
	v_fmac_f32_e32 v87, 0xbf7d64f0, v69
	v_mov_b32_e32 v90, v89
	v_fma_f32 v89, v83, s8, -v89
	v_fmac_f32_e32 v88, 0x3f7d64f0, v69
	v_add_f32_e32 v87, v87, v91
	v_fmac_f32_e32 v90, 0xbf75a155, v83
	v_mul_f32_e32 v91, 0xbf75a155, v84
	v_add_f32_e32 v89, v89, v92
	v_mul_f32_e32 v92, 0x3f68dda4, v70
	v_add_f32_e32 v88, v88, v94
	v_add_f32_e32 v90, v90, v93
	v_mov_b32_e32 v93, v91
	v_fmac_f32_e32 v91, 0x3e903f40, v69
	v_mov_b32_e32 v94, v92
	v_fma_f32 v92, v83, s4, -v92
	v_fmac_f32_e32 v93, 0xbe903f40, v69
	v_add_f32_e32 v91, v91, v95
	v_fmac_f32_e32 v94, 0x3ed4b147, v83
	v_mul_f32_e32 v95, 0x3ed4b147, v84
	v_add_f32_e32 v92, v92, v96
	v_mul_f32_e32 v96, 0xbf0a6770, v70
	v_add_f32_e32 v93, v93, v98
	v_add_f32_e32 v94, v94, v97
	v_mov_b32_e32 v97, v95
	v_fmac_f32_e32 v95, 0x3f68dda4, v69
	v_mov_b32_e32 v98, v96
	v_fma_f32 v96, v83, s6, -v96
	v_mul_f32_e32 v70, 0xbf4178ce, v70
	v_fmac_f32_e32 v97, 0xbf68dda4, v69
	v_add_f32_e32 v95, v95, v99
	v_fmac_f32_e32 v98, 0x3f575c64, v83
	v_mul_f32_e32 v99, 0x3f575c64, v84
	v_add_f32_e32 v96, v96, v100
	v_mov_b32_e32 v100, v70
	v_mul_f32_e32 v84, 0xbf27a4f4, v84
	v_fma_f32 v70, v83, s7, -v70
	v_add_f32_e32 v97, v97, v101
	v_add_f32_e32 v98, v98, v102
	v_mov_b32_e32 v101, v99
	v_mov_b32_e32 v102, v84
	v_add_f32_e32 v10, v70, v10
	v_add_f32_e32 v70, v66, v68
	v_sub_f32_e32 v66, v66, v68
	v_fmac_f32_e32 v101, 0x3f0a6770, v69
	v_fmac_f32_e32 v99, 0xbf0a6770, v69
	;; [unrolled: 1-line block ×4, first 2 shown]
	v_add_f32_e32 v69, v64, v67
	v_sub_f32_e32 v64, v64, v67
	v_mul_f32_e32 v67, 0xbf4178ce, v66
	v_mov_b32_e32 v68, v67
	v_fma_f32 v67, v69, s7, -v67
	v_fmac_f32_e32 v100, 0xbf27a4f4, v83
	v_fmac_f32_e32 v68, 0xbf27a4f4, v69
	v_mul_f32_e32 v83, 0xbf27a4f4, v70
	v_add_f32_e32 v67, v67, v85
	v_mul_f32_e32 v85, 0x3f7d64f0, v66
	v_add_f32_e32 v12, v84, v12
	v_add_f32_e32 v68, v68, v86
	v_mov_b32_e32 v84, v83
	v_fmac_f32_e32 v83, 0xbf4178ce, v64
	v_mov_b32_e32 v86, v85
	v_fma_f32 v85, v69, s5, -v85
	v_fmac_f32_e32 v84, 0x3f4178ce, v64
	v_add_f32_e32 v83, v83, v87
	v_fmac_f32_e32 v86, 0xbe11bafb, v69
	v_mul_f32_e32 v87, 0xbe11bafb, v70
	v_add_f32_e32 v85, v85, v89
	v_mul_f32_e32 v89, 0xbf0a6770, v66
	v_add_f32_e32 v84, v84, v88
	v_add_f32_e32 v86, v86, v90
	v_mov_b32_e32 v88, v87
	v_fmac_f32_e32 v87, 0x3f7d64f0, v64
	v_mov_b32_e32 v90, v89
	v_fma_f32 v89, v69, s6, -v89
	v_fmac_f32_e32 v88, 0xbf7d64f0, v64
	v_add_f32_e32 v87, v87, v91
	v_fmac_f32_e32 v90, 0x3f575c64, v69
	v_mul_f32_e32 v91, 0x3f575c64, v70
	v_add_f32_e32 v89, v89, v92
	v_mul_f32_e32 v92, 0xbe903f40, v66
	v_add_f32_e32 v88, v88, v93
	v_add_f32_e32 v90, v90, v94
	v_mov_b32_e32 v93, v91
	v_fmac_f32_e32 v91, 0xbf0a6770, v64
	v_mov_b32_e32 v94, v92
	v_fma_f32 v92, v69, s8, -v92
	v_mul_f32_e32 v66, 0x3f68dda4, v66
	v_fmac_f32_e32 v93, 0x3f0a6770, v64
	v_add_f32_e32 v91, v91, v95
	v_fmac_f32_e32 v94, 0xbf75a155, v69
	v_mul_f32_e32 v95, 0xbf75a155, v70
	v_add_f32_e32 v92, v92, v96
	v_mov_b32_e32 v96, v66
	v_mul_f32_e32 v70, 0x3ed4b147, v70
	v_fma_f32 v66, v69, s4, -v66
	v_add_f32_e32 v93, v93, v97
	v_add_f32_e32 v94, v94, v98
	v_mov_b32_e32 v97, v95
	v_mov_b32_e32 v98, v70
	v_add_f32_e32 v10, v66, v10
	v_add_f32_e32 v66, v63, v60
	v_sub_f32_e32 v60, v63, v60
	v_fmac_f32_e32 v97, 0x3e903f40, v64
	v_fmac_f32_e32 v95, 0xbe903f40, v64
	;; [unrolled: 1-line block ×4, first 2 shown]
	v_add_f32_e32 v64, v62, v58
	v_sub_f32_e32 v58, v62, v58
	v_mul_f32_e32 v62, 0xbe903f40, v60
	v_mov_b32_e32 v63, v62
	v_fmac_f32_e32 v63, 0xbf75a155, v64
	v_add_f32_e32 v63, v63, v68
	v_mul_f32_e32 v68, 0xbf75a155, v66
	v_fmac_f32_e32 v96, 0x3ed4b147, v69
	v_mov_b32_e32 v69, v68
	v_fma_f32 v62, v64, s8, -v62
	v_fmac_f32_e32 v68, 0xbe903f40, v58
	v_add_f32_e32 v62, v62, v67
	v_add_f32_e32 v67, v68, v83
	v_mul_f32_e32 v68, 0x3f0a6770, v60
	v_add_f32_e32 v12, v70, v12
	v_mov_b32_e32 v70, v68
	v_fma_f32 v68, v64, s6, -v68
	v_fmac_f32_e32 v69, 0x3e903f40, v58
	v_fmac_f32_e32 v70, 0x3f575c64, v64
	v_mul_f32_e32 v83, 0x3f575c64, v66
	v_add_f32_e32 v68, v68, v85
	v_mul_f32_e32 v85, 0xbf4178ce, v60
	v_add_f32_e32 v69, v69, v84
	v_add_f32_e32 v70, v70, v86
	v_mov_b32_e32 v84, v83
	v_fmac_f32_e32 v83, 0x3f0a6770, v58
	v_mov_b32_e32 v86, v85
	v_fma_f32 v85, v64, s7, -v85
	v_fmac_f32_e32 v84, 0xbf0a6770, v58
	v_add_f32_e32 v83, v83, v87
	v_fmac_f32_e32 v86, 0xbf27a4f4, v64
	v_mul_f32_e32 v87, 0xbf27a4f4, v66
	v_add_f32_e32 v85, v85, v89
	v_mul_f32_e32 v89, 0x3f68dda4, v60
	v_add_f32_e32 v84, v84, v88
	v_add_f32_e32 v86, v86, v90
	v_mov_b32_e32 v88, v87
	v_fmac_f32_e32 v87, 0xbf4178ce, v58
	v_mov_b32_e32 v90, v89
	v_fmac_f32_e32 v88, 0x3f4178ce, v58
	v_add_f32_e32 v87, v87, v91
	v_fmac_f32_e32 v90, 0x3ed4b147, v64
	v_mul_f32_e32 v91, 0x3ed4b147, v66
	v_fma_f32 v89, v64, s4, -v89
	v_mul_f32_e32 v60, 0xbf7d64f0, v60
	v_mul_f32_e32 v66, 0xbe11bafb, v66
	v_add_f32_e32 v88, v88, v93
	v_add_f32_e32 v90, v90, v94
	v_mov_b32_e32 v93, v91
	v_add_f32_e32 v89, v89, v92
	v_mov_b32_e32 v92, v60
	v_mov_b32_e32 v94, v66
	v_fmac_f32_e32 v66, 0xbf7d64f0, v58
	v_fmac_f32_e32 v93, 0xbf68dda4, v58
	v_fmac_f32_e32 v91, 0x3f68dda4, v58
	v_fmac_f32_e32 v92, 0xbe11bafb, v64
	v_fmac_f32_e32 v94, 0x3f7d64f0, v58
	v_fma_f32 v60, v64, s5, -v60
	v_add_f32_e32 v64, v66, v12
	v_add_f32_e32 v12, v5, v34
	;; [unrolled: 1-line block ×28, first 2 shown]
	v_sub_f32_e32 v35, v35, v50
	v_add_f32_e32 v99, v99, v103
	v_add_f32_e32 v100, v100, v105
	;; [unrolled: 1-line block ×7, first 2 shown]
	v_sub_f32_e32 v34, v34, v49
	v_mul_f32_e32 v49, 0xbf0a6770, v35
	v_mul_f32_e32 v97, 0xbf68dda4, v35
	;; [unrolled: 1-line block ×5, first 2 shown]
	v_add_f32_e32 v95, v95, v99
	v_add_f32_e32 v94, v94, v98
	v_mov_b32_e32 v50, v49
	v_mov_b32_e32 v98, v97
	;; [unrolled: 1-line block ×5, first 2 shown]
	v_add_f32_e32 v96, v96, v100
	v_add_f32_e32 v91, v91, v95
	v_fmac_f32_e32 v50, 0x3f575c64, v58
	v_mul_f32_e32 v95, 0x3f575c64, v60
	v_fma_f32 v49, v58, s6, -v49
	v_fmac_f32_e32 v98, 0x3ed4b147, v58
	v_mul_f32_e32 v99, 0x3ed4b147, v60
	v_fma_f32 v97, v58, s4, -v97
	v_fmac_f32_e32 v102, 0xbe11bafb, v58
	v_mul_f32_e32 v103, 0xbe11bafb, v60
	v_fma_f32 v101, v58, s5, -v101
	v_fmac_f32_e32 v106, 0xbf27a4f4, v58
	v_mul_f32_e32 v107, 0xbf27a4f4, v60
	v_fma_f32 v105, v58, s7, -v105
	v_fmac_f32_e32 v109, 0xbf75a155, v58
	v_mul_f32_e32 v60, 0xbf75a155, v60
	v_fma_f32 v35, v58, s8, -v35
	v_add_f32_e32 v92, v92, v96
	v_add_f32_e32 v50, v5, v50
	v_mov_b32_e32 v96, v95
	v_add_f32_e32 v49, v5, v49
	v_add_f32_e32 v98, v5, v98
	v_mov_b32_e32 v100, v99
	;; [unrolled: 3-line block ×5, first 2 shown]
	v_add_f32_e32 v5, v5, v35
	v_add_f32_e32 v35, v29, v37
	v_sub_f32_e32 v29, v29, v37
	v_fmac_f32_e32 v96, 0x3f0a6770, v34
	v_fmac_f32_e32 v95, 0xbf0a6770, v34
	;; [unrolled: 1-line block ×10, first 2 shown]
	v_add_f32_e32 v34, v28, v36
	v_sub_f32_e32 v28, v28, v36
	v_mul_f32_e32 v36, 0xbf68dda4, v29
	v_mov_b32_e32 v37, v36
	v_fmac_f32_e32 v37, 0x3ed4b147, v34
	v_add_f32_e32 v37, v37, v50
	v_mul_f32_e32 v50, 0x3ed4b147, v35
	v_add_f32_e32 v95, v7, v95
	v_mov_b32_e32 v58, v50
	v_fma_f32 v36, v34, s4, -v36
	v_fmac_f32_e32 v50, 0xbf68dda4, v28
	v_add_f32_e32 v36, v36, v49
	v_add_f32_e32 v49, v50, v95
	v_mul_f32_e32 v50, 0xbf4178ce, v29
	v_add_f32_e32 v96, v7, v96
	v_add_f32_e32 v100, v7, v100
	;; [unrolled: 1-line block ×9, first 2 shown]
	v_mov_b32_e32 v60, v50
	v_fma_f32 v50, v34, s7, -v50
	v_fmac_f32_e32 v58, 0x3f68dda4, v28
	v_fmac_f32_e32 v60, 0xbf27a4f4, v34
	v_mul_f32_e32 v95, 0xbf27a4f4, v35
	v_add_f32_e32 v50, v50, v97
	v_mul_f32_e32 v97, 0x3e903f40, v29
	v_add_f32_e32 v58, v58, v96
	v_add_f32_e32 v60, v60, v98
	v_mov_b32_e32 v96, v95
	v_fmac_f32_e32 v95, 0xbf4178ce, v28
	v_mov_b32_e32 v98, v97
	v_fma_f32 v97, v34, s8, -v97
	v_fmac_f32_e32 v96, 0x3f4178ce, v28
	v_add_f32_e32 v95, v95, v99
	v_fmac_f32_e32 v98, 0xbf75a155, v34
	v_mul_f32_e32 v99, 0xbf75a155, v35
	v_add_f32_e32 v97, v97, v101
	v_mul_f32_e32 v101, 0x3f7d64f0, v29
	v_add_f32_e32 v96, v96, v100
	v_add_f32_e32 v98, v98, v102
	v_mov_b32_e32 v100, v99
	v_fmac_f32_e32 v99, 0x3e903f40, v28
	v_mov_b32_e32 v102, v101
	v_fma_f32 v101, v34, s5, -v101
	v_mul_f32_e32 v29, 0x3f0a6770, v29
	v_fmac_f32_e32 v100, 0xbe903f40, v28
	v_add_f32_e32 v99, v99, v103
	v_fmac_f32_e32 v102, 0xbe11bafb, v34
	v_mul_f32_e32 v103, 0xbe11bafb, v35
	v_add_f32_e32 v101, v101, v105
	v_mov_b32_e32 v105, v29
	v_mul_f32_e32 v35, 0x3f575c64, v35
	v_fma_f32 v29, v34, s6, -v29
	v_add_f32_e32 v100, v100, v104
	v_add_f32_e32 v102, v102, v106
	v_mov_b32_e32 v104, v103
	v_mov_b32_e32 v106, v35
	v_add_f32_e32 v5, v29, v5
	v_add_f32_e32 v29, v31, v33
	v_sub_f32_e32 v31, v31, v33
	v_fmac_f32_e32 v104, 0xbf7d64f0, v28
	v_fmac_f32_e32 v103, 0x3f7d64f0, v28
	;; [unrolled: 1-line block ×4, first 2 shown]
	v_add_f32_e32 v28, v30, v32
	v_sub_f32_e32 v30, v30, v32
	v_mul_f32_e32 v32, 0xbf7d64f0, v31
	v_mov_b32_e32 v33, v32
	v_fma_f32 v32, v28, s5, -v32
	v_fmac_f32_e32 v105, 0x3f575c64, v34
	v_fmac_f32_e32 v33, 0xbe11bafb, v28
	v_mul_f32_e32 v34, 0xbe11bafb, v29
	v_add_f32_e32 v32, v32, v36
	v_mul_f32_e32 v36, 0x3e903f40, v31
	v_add_f32_e32 v7, v35, v7
	v_add_f32_e32 v33, v33, v37
	v_mov_b32_e32 v35, v34
	v_fmac_f32_e32 v34, 0xbf7d64f0, v30
	v_mov_b32_e32 v37, v36
	v_fma_f32 v36, v28, s8, -v36
	v_fmac_f32_e32 v35, 0x3f7d64f0, v30
	v_add_f32_e32 v34, v34, v49
	v_fmac_f32_e32 v37, 0xbf75a155, v28
	v_mul_f32_e32 v49, 0xbf75a155, v29
	v_add_f32_e32 v36, v36, v50
	v_mul_f32_e32 v50, 0x3f68dda4, v31
	v_add_f32_e32 v35, v35, v58
	v_add_f32_e32 v37, v37, v60
	v_mov_b32_e32 v58, v49
	v_fmac_f32_e32 v49, 0x3e903f40, v30
	v_mov_b32_e32 v60, v50
	v_fma_f32 v50, v28, s4, -v50
	v_fmac_f32_e32 v58, 0xbe903f40, v30
	v_add_f32_e32 v49, v49, v95
	v_fmac_f32_e32 v60, 0x3ed4b147, v28
	v_mul_f32_e32 v95, 0x3ed4b147, v29
	v_add_f32_e32 v50, v50, v97
	v_mul_f32_e32 v97, 0xbf0a6770, v31
	v_add_f32_e32 v58, v58, v96
	v_add_f32_e32 v60, v60, v98
	v_mov_b32_e32 v96, v95
	v_fmac_f32_e32 v95, 0x3f68dda4, v30
	v_mov_b32_e32 v98, v97
	v_add_f32_e32 v95, v95, v99
	v_fmac_f32_e32 v98, 0x3f575c64, v28
	v_mul_f32_e32 v99, 0x3f575c64, v29
	v_fma_f32 v97, v28, s6, -v97
	v_mul_f32_e32 v31, 0xbf4178ce, v31
	v_mul_f32_e32 v29, 0xbf27a4f4, v29
	v_add_f32_e32 v98, v98, v102
	v_add_f32_e32 v97, v97, v101
	v_mov_b32_e32 v101, v31
	v_mov_b32_e32 v102, v29
	v_fmac_f32_e32 v29, 0xbf4178ce, v30
	v_fmac_f32_e32 v101, 0xbf27a4f4, v28
	v_fma_f32 v28, v28, s7, -v31
	v_add_f32_e32 v7, v29, v7
	v_add_f32_e32 v29, v25, v27
	v_sub_f32_e32 v25, v25, v27
	v_fmac_f32_e32 v96, 0xbf68dda4, v30
	v_add_f32_e32 v5, v28, v5
	v_add_f32_e32 v28, v24, v26
	v_sub_f32_e32 v24, v24, v26
	v_mul_f32_e32 v26, 0xbf4178ce, v25
	v_add_f32_e32 v96, v96, v100
	v_mov_b32_e32 v100, v99
	v_mov_b32_e32 v27, v26
	v_fma_f32 v26, v28, s7, -v26
	v_fmac_f32_e32 v100, 0x3f0a6770, v30
	v_fmac_f32_e32 v99, 0xbf0a6770, v30
	;; [unrolled: 1-line block ×4, first 2 shown]
	v_mul_f32_e32 v30, 0xbf27a4f4, v29
	v_add_f32_e32 v26, v26, v32
	v_mul_f32_e32 v32, 0x3f7d64f0, v25
	v_add_f32_e32 v27, v27, v33
	v_mov_b32_e32 v31, v30
	v_fmac_f32_e32 v30, 0xbf4178ce, v24
	v_mov_b32_e32 v33, v32
	v_fma_f32 v32, v28, s5, -v32
	v_fmac_f32_e32 v31, 0x3f4178ce, v24
	v_add_f32_e32 v30, v30, v34
	v_fmac_f32_e32 v33, 0xbe11bafb, v28
	v_mul_f32_e32 v34, 0xbe11bafb, v29
	v_add_f32_e32 v32, v32, v36
	v_mul_f32_e32 v36, 0xbf0a6770, v25
	v_add_f32_e32 v31, v31, v35
	v_add_f32_e32 v33, v33, v37
	v_mov_b32_e32 v35, v34
	v_fmac_f32_e32 v34, 0x3f7d64f0, v24
	v_mov_b32_e32 v37, v36
	v_fma_f32 v36, v28, s6, -v36
	v_fmac_f32_e32 v35, 0xbf7d64f0, v24
	v_add_f32_e32 v34, v34, v49
	v_fmac_f32_e32 v37, 0x3f575c64, v28
	v_mul_f32_e32 v49, 0x3f575c64, v29
	v_add_f32_e32 v36, v36, v50
	v_mul_f32_e32 v50, 0xbe903f40, v25
	v_add_f32_e32 v35, v35, v58
	v_add_f32_e32 v37, v37, v60
	v_mov_b32_e32 v58, v49
	v_fmac_f32_e32 v49, 0xbf0a6770, v24
	v_mov_b32_e32 v60, v50
	v_fma_f32 v50, v28, s8, -v50
	v_mul_f32_e32 v25, 0x3f68dda4, v25
	v_fmac_f32_e32 v58, 0x3f0a6770, v24
	v_add_f32_e32 v49, v49, v95
	v_fmac_f32_e32 v60, 0xbf75a155, v28
	v_mul_f32_e32 v95, 0xbf75a155, v29
	v_add_f32_e32 v50, v50, v97
	v_mov_b32_e32 v97, v25
	v_mul_f32_e32 v29, 0x3ed4b147, v29
	v_fma_f32 v25, v28, s4, -v25
	v_add_f32_e32 v58, v58, v96
	v_add_f32_e32 v60, v60, v98
	v_mov_b32_e32 v96, v95
	v_mov_b32_e32 v98, v29
	v_add_f32_e32 v5, v25, v5
	v_add_f32_e32 v25, v21, v23
	v_sub_f32_e32 v21, v21, v23
	v_fmac_f32_e32 v96, 0x3e903f40, v24
	v_fmac_f32_e32 v95, 0xbe903f40, v24
	;; [unrolled: 1-line block ×4, first 2 shown]
	v_add_f32_e32 v24, v18, v22
	v_sub_f32_e32 v18, v18, v22
	v_mul_f32_e32 v22, 0xbe903f40, v21
	v_mov_b32_e32 v23, v22
	v_fmac_f32_e32 v23, 0xbf75a155, v24
	v_add_f32_e32 v23, v23, v27
	v_mul_f32_e32 v27, 0xbf75a155, v25
	v_add_f32_e32 v103, v103, v107
	v_fmac_f32_e32 v97, 0x3ed4b147, v28
	v_mov_b32_e32 v28, v27
	v_fma_f32 v22, v24, s8, -v22
	v_add_f32_e32 v99, v99, v103
	v_fmac_f32_e32 v28, 0x3e903f40, v18
	v_add_f32_e32 v22, v22, v26
	v_fmac_f32_e32 v27, 0xbe903f40, v18
	v_mul_f32_e32 v26, 0x3f0a6770, v21
	v_add_f32_e32 v95, v95, v99
	v_add_f32_e32 v31, v28, v31
	;; [unrolled: 1-line block ×3, first 2 shown]
	v_mov_b32_e32 v27, v26
	v_mul_f32_e32 v28, 0x3f575c64, v25
	v_add_f32_e32 v104, v104, v108
	v_add_f32_e32 v106, v106, v110
	;; [unrolled: 1-line block ×3, first 2 shown]
	v_fmac_f32_e32 v27, 0x3f575c64, v24
	v_mov_b32_e32 v29, v28
	v_fma_f32 v26, v24, s6, -v26
	v_fmac_f32_e32 v28, 0x3f0a6770, v18
	v_mul_f32_e32 v30, 0xbf27a4f4, v25
	v_add_f32_e32 v105, v105, v109
	v_add_f32_e32 v100, v100, v104
	;; [unrolled: 1-line block ×4, first 2 shown]
	v_fmac_f32_e32 v29, 0xbf0a6770, v18
	v_add_f32_e32 v26, v26, v32
	v_add_f32_e32 v32, v28, v34
	v_mov_b32_e32 v33, v30
	v_fmac_f32_e32 v30, 0xbf4178ce, v18
	v_mul_f32_e32 v34, 0x3ed4b147, v25
	v_add_f32_e32 v101, v101, v105
	v_add_f32_e32 v96, v96, v100
	;; [unrolled: 1-line block ×4, first 2 shown]
	v_mul_f32_e32 v28, 0xbf4178ce, v21
	v_fmac_f32_e32 v33, 0x3f4178ce, v18
	v_add_f32_e32 v102, v30, v49
	v_mul_f32_e32 v30, 0x3f68dda4, v21
	v_mov_b32_e32 v35, v34
	v_fmac_f32_e32 v34, 0x3f68dda4, v18
	v_mul_f32_e32 v21, 0xbf7d64f0, v21
	v_add_f32_e32 v97, v97, v101
	v_add_f32_e32 v101, v33, v58
	v_mov_b32_e32 v33, v30
	v_add_f32_e32 v95, v34, v95
	v_mov_b32_e32 v34, v21
	v_mov_b32_e32 v29, v28
	v_fmac_f32_e32 v33, 0x3ed4b147, v24
	v_fmac_f32_e32 v35, 0xbf68dda4, v18
	;; [unrolled: 1-line block ×3, first 2 shown]
	v_mul_f32_e32 v25, 0xbe11bafb, v25
	v_fma_f32 v21, v24, s5, -v21
	s_waitcnt lgkmcnt(0)
	; wave barrier
	ds_write2_b32 v0, v8, v11 offset1:51
	ds_write2_b32 v0, v39, v45 offset0:102 offset1:153
	ds_write2_b32 v0, v54, v57 offset0:204 offset1:255
	;; [unrolled: 1-line block ×10, first 2 shown]
	v_lshl_add_u32 v8, v17, 2, 0
	v_fmac_f32_e32 v29, 0xbf27a4f4, v24
	v_fma_f32 v28, v24, s7, -v28
	v_add_f32_e32 v33, v33, v60
	v_add_f32_e32 v96, v35, v96
	v_fma_f32 v30, v24, s4, -v30
	v_add_f32_e32 v34, v34, v97
	v_mov_b32_e32 v35, v25
	v_add_f32_e32 v5, v21, v5
	v_add_u32_e32 v10, 0x1000, v8
	v_add_u32_e32 v62, 0x1400, v8
	v_add_f32_e32 v29, v29, v37
	v_add_f32_e32 v28, v28, v36
	v_add_f32_e32 v30, v30, v50
	v_fmac_f32_e32 v35, 0x3f7d64f0, v18
	v_fmac_f32_e32 v25, 0xbf7d64f0, v18
	ds_write2_b32 v10, v12, v23 offset0:98 offset1:149
	ds_write2_b32 v10, v27, v29 offset0:200 offset1:251
	;; [unrolled: 1-line block ×4, first 2 shown]
	v_add_u32_e32 v5, 0x1600, v8
	v_add_f32_e32 v97, v35, v98
	v_add_f32_e32 v98, v25, v7
	ds_write2_b32 v5, v28, v26 offset0:122 offset1:173
	ds_write_b32 v8, v22 offset:6528
	s_waitcnt lgkmcnt(0)
	; wave barrier
	s_waitcnt lgkmcnt(0)
	ds_read2_b32 v[23:24], v0 offset1:51
	ds_read2_b32 v[27:28], v72 offset0:126 offset1:177
	ds_read2_b32 v[25:26], v78 offset0:98 offset1:149
	;; [unrolled: 1-line block ×15, first 2 shown]
	ds_read_b32 v7, v0 offset:6528
	s_waitcnt lgkmcnt(0)
	; wave barrier
	s_waitcnt lgkmcnt(0)
	ds_write2_b32 v0, v6, v9 offset1:51
	ds_write2_b32 v0, v43, v47 offset0:102 offset1:153
	ds_write2_b32 v0, v51, v53 offset0:204 offset1:255
	;; [unrolled: 1-line block ×15, first 2 shown]
	ds_write_b32 v8, v99 offset:6528
	s_waitcnt lgkmcnt(0)
	; wave barrier
	s_waitcnt lgkmcnt(0)
	s_and_saveexec_b64 s[4:5], s[0:1]
	s_cbranch_execz .LBB0_21
; %bb.20:
	v_lshlrev_b32_e32 v5, 1, v16
	v_mov_b32_e32 v6, 0
	v_lshlrev_b64 v[8:9], 3, v[5:6]
	v_mov_b32_e32 v61, s13
	v_add_co_u32_e32 v5, vcc, s12, v8
	v_addc_co_u32_e32 v9, vcc, v61, v9, vcc
	v_add_co_u32_e32 v8, vcc, 0x1000, v5
	v_addc_co_u32_e32 v9, vcc, 0, v9, vcc
	v_lshlrev_b32_e32 v5, 1, v15
	global_load_dwordx4 v[62:65], v[8:9], off offset:256
	v_lshlrev_b64 v[8:9], 3, v[5:6]
	s_movk_i32 s0, 0x1000
	v_add_co_u32_e32 v5, vcc, s12, v8
	v_addc_co_u32_e32 v9, vcc, v61, v9, vcc
	v_add_co_u32_e32 v8, vcc, s0, v5
	v_addc_co_u32_e32 v9, vcc, 0, v9, vcc
	global_load_dwordx4 v[66:69], v[8:9], off offset:256
	v_lshlrev_b32_e32 v5, 1, v14
	v_mul_lo_u32 v8, s3, v3
	v_mul_lo_u32 v9, s2, v4
	v_mad_u64_u32 v[43:44], s[2:3], s2, v3, 0
	v_lshlrev_b64 v[3:4], 3, v[5:6]
	v_add_u32_e32 v10, 0x600, v0
	v_add_co_u32_e32 v3, vcc, s12, v3
	v_addc_co_u32_e32 v4, vcc, v61, v4, vcc
	v_add_co_u32_e32 v3, vcc, s0, v3
	v_addc_co_u32_e32 v4, vcc, 0, v4, vcc
	global_load_dwordx4 v[75:78], v[3:4], off offset:256
	v_add_u32_e32 v15, 0xe00, v0
	v_add_u32_e32 v3, 0x1600, v0
	v_lshlrev_b32_e32 v5, 1, v13
	ds_read_b32 v42, v0 offset:6528
	v_add_u32_e32 v56, 0x400, v0
	ds_read2_b32 v[52:53], v10 offset0:126 offset1:177
	ds_read2_b32 v[15:16], v15 offset0:124 offset1:175
	;; [unrolled: 1-line block ×4, first 2 shown]
	v_lshlrev_b64 v[3:4], 3, v[5:6]
	v_add3_u32 v44, v44, v9, v8
	v_add_co_u32_e32 v3, vcc, s12, v3
	v_addc_co_u32_e32 v4, vcc, v61, v4, vcc
	v_add_co_u32_e32 v3, vcc, s0, v3
	v_addc_co_u32_e32 v4, vcc, 0, v4, vcc
	global_load_dwordx4 v[83:86], v[3:4], off offset:256
	v_add_u32_e32 v70, 0x1400, v0
	v_add_u32_e32 v90, 0x800, v0
	s_mov_b32 s1, 0xd347a4bd
	v_lshlrev_b64 v[43:44], 3, v[43:44]
	s_waitcnt vmcnt(3)
	v_mul_f32_e32 v3, v12, v63
	v_mul_f32_e32 v4, v7, v65
	s_waitcnt lgkmcnt(2)
	v_mul_f32_e32 v5, v16, v63
	v_mul_f32_e32 v9, v42, v65
	v_fma_f32 v3, v62, v16, -v3
	v_fma_f32 v4, v64, v42, -v4
	v_fmac_f32_e32 v5, v12, v62
	v_fmac_f32_e32 v9, v7, v64
	v_add_f32_e32 v7, v3, v4
	v_sub_f32_e32 v12, v5, v9
	v_add_f32_e32 v13, v5, v9
	s_waitcnt vmcnt(2)
	v_mul_f32_e32 v10, v11, v67
	v_mul_f32_e32 v8, v18, v69
	v_fma_f32 v51, v66, v15, -v10
	s_waitcnt lgkmcnt(1)
	v_fma_f32 v42, v68, v32, -v8
	v_add_f32_e32 v10, v52, v3
	v_sub_f32_e32 v16, v3, v4
	v_add_f32_e32 v3, v27, v5
	s_waitcnt lgkmcnt(0)
	v_add_f32_e32 v5, v48, v51
	v_add_f32_e32 v14, v42, v5
	v_mul_f32_e32 v5, v15, v67
	v_fmac_f32_e32 v5, v11, v66
	v_mul_f32_e32 v15, v32, v69
	v_fma_f32 v8, -0.5, v7, v52
	v_fma_f32 v7, -0.5, v13, v27
	v_add_f32_e32 v11, v22, v5
	v_fmac_f32_e32 v15, v18, v68
	v_add_f32_e32 v9, v3, v9
	v_mov_b32_e32 v3, v7
	v_add_f32_e32 v13, v15, v11
	v_add_f32_e32 v11, v42, v51
	v_fmac_f32_e32 v7, 0xbf5db3d7, v16
	v_fmac_f32_e32 v3, 0x3f5db3d7, v16
	v_fma_f32 v16, -0.5, v11, v48
	v_sub_f32_e32 v11, v5, v15
	v_add_f32_e32 v5, v15, v5
	v_fma_f32 v15, -0.5, v5, v22
	v_lshlrev_b32_e32 v5, 1, v20
	v_sub_f32_e32 v18, v51, v42
	v_lshlrev_b64 v[51:52], 3, v[5:6]
	v_add_f32_e32 v10, v10, v4
	v_mov_b32_e32 v4, v8
	v_fmac_f32_e32 v8, 0x3f5db3d7, v12
	v_fmac_f32_e32 v4, 0xbf5db3d7, v12
	v_mov_b32_e32 v12, v16
	v_add_co_u32_e32 v5, vcc, s12, v51
	v_fmac_f32_e32 v12, 0xbf5db3d7, v11
	v_fmac_f32_e32 v16, 0x3f5db3d7, v11
	v_addc_co_u32_e32 v11, vcc, v61, v52, vcc
	v_add_co_u32_e32 v51, vcc, s0, v5
	v_addc_co_u32_e32 v52, vcc, 0, v11, vcc
	v_add_u32_e32 v27, 0xc00, v0
	global_load_dwordx4 v[62:65], v[51:52], off offset:256
	ds_read2_b32 v[51:52], v27 offset0:150 offset1:201
	s_waitcnt vmcnt(2)
	v_mul_f32_e32 v5, v30, v76
	v_mov_b32_e32 v11, v15
	v_fmac_f32_e32 v11, 0x3f5db3d7, v18
	v_fmac_f32_e32 v15, 0xbf5db3d7, v18
	s_waitcnt lgkmcnt(0)
	v_fma_f32 v22, v75, v52, -v5
	v_mul_f32_e32 v5, v17, v78
	v_fma_f32 v32, v77, v31, -v5
	v_add_f32_e32 v5, v22, v32
	v_fma_f32 v18, -0.5, v5, v47
	v_lshlrev_b32_e32 v5, 1, v19
	v_lshlrev_b64 v[19:20], 3, v[5:6]
	v_mul_f32_e32 v42, v52, v76
	v_fmac_f32_e32 v42, v30, v75
	v_mul_f32_e32 v30, v31, v78
	v_add_co_u32_e32 v5, vcc, s12, v19
	v_fmac_f32_e32 v30, v17, v77
	v_addc_co_u32_e32 v17, vcc, v61, v20, vcc
	v_add_co_u32_e32 v19, vcc, s0, v5
	v_addc_co_u32_e32 v20, vcc, 0, v17, vcc
	global_load_dwordx4 v[66:69], v[19:20], off offset:256
	v_sub_f32_e32 v5, v42, v30
	v_mov_b32_e32 v20, v18
	v_fmac_f32_e32 v20, 0xbf5db3d7, v5
	v_fmac_f32_e32 v18, 0x3f5db3d7, v5
	v_add_f32_e32 v5, v47, v22
	ds_read2_b32 v[47:48], v70 offset0:148 offset1:199
	ds_read2_b32 v[72:73], v56 offset0:50 offset1:101
	v_add_f32_e32 v17, v42, v30
	v_sub_f32_e32 v31, v22, v32
	v_add_f32_e32 v22, v5, v32
	v_add_f32_e32 v5, v21, v42
	v_fma_f32 v17, -0.5, v17, v21
	v_add_f32_e32 v21, v5, v30
	s_waitcnt vmcnt(2)
	v_mul_f32_e32 v5, v29, v84
	v_fma_f32 v52, v83, v51, -v5
	v_mul_f32_e32 v5, v46, v86
	s_waitcnt lgkmcnt(1)
	v_fma_f32 v56, v85, v48, -v5
	v_mul_f32_e32 v51, v51, v84
	v_mul_f32_e32 v48, v48, v86
	v_add_f32_e32 v5, v52, v56
	v_fmac_f32_e32 v51, v29, v83
	v_fmac_f32_e32 v48, v46, v85
	v_mov_b32_e32 v19, v17
	s_waitcnt lgkmcnt(0)
	v_fma_f32 v32, -0.5, v5, v73
	v_add_f32_e32 v29, v51, v48
	v_fmac_f32_e32 v19, 0x3f5db3d7, v31
	v_fmac_f32_e32 v17, 0xbf5db3d7, v31
	v_sub_f32_e32 v5, v51, v48
	v_mov_b32_e32 v30, v32
	v_fma_f32 v31, -0.5, v29, v60
	v_fmac_f32_e32 v30, 0xbf5db3d7, v5
	v_sub_f32_e32 v42, v52, v56
	v_mov_b32_e32 v29, v31
	v_fmac_f32_e32 v32, 0x3f5db3d7, v5
	v_lshlrev_b32_e32 v5, 1, v41
	v_fmac_f32_e32 v29, 0x3f5db3d7, v42
	v_fmac_f32_e32 v31, 0xbf5db3d7, v42
	v_lshlrev_b64 v[41:42], 3, v[5:6]
	ds_read2_b32 v[80:81], v27 offset0:48 offset1:99
	v_add_co_u32_e32 v5, vcc, s12, v41
	v_addc_co_u32_e32 v42, vcc, v61, v42, vcc
	v_add_co_u32_e32 v41, vcc, s0, v5
	v_addc_co_u32_e32 v42, vcc, 0, v42, vcc
	global_load_dwordx4 v[75:78], v[41:42], off offset:256
	v_add_f32_e32 v5, v73, v52
	v_add_f32_e32 v42, v5, v56
	;; [unrolled: 1-line block ×4, first 2 shown]
	s_waitcnt vmcnt(2)
	v_mul_f32_e32 v5, v58, v63
	v_mul_f32_e32 v27, v45, v65
	s_waitcnt lgkmcnt(0)
	v_fma_f32 v5, v62, v81, -v5
	v_fma_f32 v27, v64, v47, -v27
	v_add_f32_e32 v46, v5, v27
	v_mul_f32_e32 v51, v81, v63
	v_mul_f32_e32 v56, v47, v65
	v_fma_f32 v48, -0.5, v46, v72
	v_fmac_f32_e32 v51, v58, v62
	v_fmac_f32_e32 v56, v45, v64
	v_sub_f32_e32 v52, v51, v56
	v_mov_b32_e32 v46, v48
	v_add_f32_e32 v45, v51, v56
	v_sub_f32_e32 v58, v5, v27
	v_add_f32_e32 v5, v72, v5
	v_fmac_f32_e32 v46, 0xbf5db3d7, v52
	v_fma_f32 v47, -0.5, v45, v59
	v_fmac_f32_e32 v48, 0x3f5db3d7, v52
	v_add_f32_e32 v52, v5, v27
	v_add_f32_e32 v5, v59, v51
	ds_read2_b32 v[59:60], v70 offset0:46 offset1:97
	ds_read2_b32 v[83:84], v0 offset0:204 offset1:255
	v_add_f32_e32 v51, v5, v56
	v_mov_b32_e32 v45, v47
	v_fmac_f32_e32 v45, 0x3f5db3d7, v58
	v_fmac_f32_e32 v47, 0xbf5db3d7, v58
	s_waitcnt vmcnt(1)
	v_mul_f32_e32 v5, v57, v67
	v_fma_f32 v27, v66, v80, -v5
	v_mul_f32_e32 v5, v55, v69
	s_waitcnt lgkmcnt(1)
	v_fma_f32 v70, v68, v60, -v5
	v_add_f32_e32 v5, v27, v70
	s_waitcnt lgkmcnt(0)
	v_fma_f32 v56, -0.5, v5, v84
	v_lshlrev_b32_e32 v5, 1, v82
	v_lshlrev_b64 v[62:63], 3, v[5:6]
	v_mul_f32_e32 v72, v80, v67
	v_add_co_u32_e32 v5, vcc, s12, v62
	v_mul_f32_e32 v60, v60, v69
	v_addc_co_u32_e32 v58, vcc, v61, v63, vcc
	v_fmac_f32_e32 v72, v57, v66
	v_fmac_f32_e32 v60, v55, v68
	v_add_co_u32_e32 v62, vcc, s0, v5
	v_add_f32_e32 v55, v72, v60
	v_addc_co_u32_e32 v63, vcc, 0, v58, vcc
	v_sub_f32_e32 v5, v72, v60
	v_mov_b32_e32 v58, v56
	v_fma_f32 v55, -0.5, v55, v50
	v_fmac_f32_e32 v58, 0xbf5db3d7, v5
	v_sub_f32_e32 v66, v27, v70
	v_mov_b32_e32 v57, v55
	v_fmac_f32_e32 v56, 0x3f5db3d7, v5
	v_lshlrev_b32_e32 v5, 1, v74
	global_load_dwordx4 v[62:65], v[62:63], off offset:256
	v_fmac_f32_e32 v57, 0x3f5db3d7, v66
	v_fmac_f32_e32 v55, 0xbf5db3d7, v66
	v_lshlrev_b64 v[66:67], 3, v[5:6]
	ds_read2_b32 v[80:81], v90 offset0:202 offset1:253
	v_add_co_u32_e32 v5, vcc, s12, v66
	v_addc_co_u32_e32 v67, vcc, v61, v67, vcc
	v_add_co_u32_e32 v66, vcc, s0, v5
	v_add_f32_e32 v5, v50, v72
	v_add_f32_e32 v27, v84, v27
	;; [unrolled: 1-line block ×4, first 2 shown]
	v_addc_co_u32_e32 v67, vcc, 0, v67, vcc
	global_load_dwordx4 v[66:69], v[66:67], off offset:256
	s_waitcnt vmcnt(2)
	v_mul_f32_e32 v5, v40, v76
	s_waitcnt lgkmcnt(0)
	v_fma_f32 v27, v75, v81, -v5
	v_mul_f32_e32 v5, v54, v78
	v_fma_f32 v50, v77, v59, -v5
	v_add_f32_e32 v5, v27, v50
	v_fma_f32 v60, -0.5, v5, v83
	v_lshlrev_b32_e32 v5, 1, v71
	v_lshlrev_b64 v[70:71], 3, v[5:6]
	v_mul_f32_e32 v74, v81, v76
	v_fmac_f32_e32 v74, v40, v75
	v_mul_f32_e32 v40, v59, v78
	v_add_co_u32_e32 v5, vcc, s12, v70
	v_fmac_f32_e32 v40, v54, v77
	v_addc_co_u32_e32 v54, vcc, v61, v71, vcc
	v_add_co_u32_e32 v70, vcc, s0, v5
	v_sub_f32_e32 v5, v74, v40
	v_mov_b32_e32 v82, v60
	v_addc_co_u32_e32 v71, vcc, 0, v54, vcc
	v_fmac_f32_e32 v82, 0xbf5db3d7, v5
	v_add_f32_e32 v54, v74, v40
	v_fmac_f32_e32 v60, 0x3f5db3d7, v5
	v_add_f32_e32 v5, v83, v27
	v_fma_f32 v59, -0.5, v54, v49
	v_sub_f32_e32 v54, v27, v50
	v_add_f32_e32 v50, v5, v50
	v_lshlrev_b32_e32 v5, 1, v79
	global_load_dwordx4 v[70:73], v[70:71], off offset:256
	v_add_f32_e32 v27, v49, v74
	v_lshlrev_b64 v[74:75], 3, v[5:6]
	v_mov_b32_e32 v81, v59
	v_add_co_u32_e32 v5, vcc, s12, v74
	v_addc_co_u32_e32 v49, vcc, v61, v75, vcc
	v_add_co_u32_e32 v74, vcc, s0, v5
	v_addc_co_u32_e32 v75, vcc, 0, v49, vcc
	global_load_dwordx4 v[74:77], v[74:75], off offset:256
	v_add_u32_e32 v5, 0x1000, v0
	ds_read2_b32 v[86:87], v5 offset0:200 offset1:251
	ds_read2_b32 v[88:89], v0 offset0:102 offset1:153
	v_add_f32_e32 v49, v27, v40
	v_fmac_f32_e32 v81, 0x3f5db3d7, v54
	v_fmac_f32_e32 v59, 0xbf5db3d7, v54
	s_waitcnt vmcnt(3)
	v_mul_f32_e32 v27, v39, v63
	v_mul_f32_e32 v40, v38, v65
	v_fma_f32 v27, v62, v80, -v27
	s_waitcnt lgkmcnt(1)
	v_fma_f32 v54, v64, v87, -v40
	v_add_f32_e32 v40, v27, v54
	s_waitcnt lgkmcnt(0)
	v_fma_f32 v40, -0.5, v40, v89
	v_sub_f32_e32 v78, v27, v54
	v_add_f32_e32 v27, v89, v27
	ds_read2_b32 v[89:90], v90 offset0:100 offset1:151
	v_mul_f32_e32 v63, v80, v63
	v_mul_f32_e32 v65, v87, v65
	v_fmac_f32_e32 v63, v39, v62
	v_fmac_f32_e32 v65, v38, v64
	v_add_f32_e32 v39, v63, v65
	v_add_f32_e32 v64, v27, v54
	;; [unrolled: 1-line block ×3, first 2 shown]
	v_sub_f32_e32 v38, v63, v65
	s_waitcnt vmcnt(2) lgkmcnt(0)
	v_mul_f32_e32 v54, v90, v67
	v_fma_f32 v39, -0.5, v39, v36
	v_add_f32_e32 v63, v27, v65
	v_mul_f32_e32 v27, v34, v67
	v_mul_f32_e32 v36, v37, v69
	v_fmac_f32_e32 v54, v34, v66
	v_mul_f32_e32 v34, v86, v69
	v_mov_b32_e32 v62, v40
	v_fma_f32 v27, v66, v90, -v27
	v_fma_f32 v36, v68, v86, -v36
	v_fmac_f32_e32 v34, v37, v68
	v_fmac_f32_e32 v62, 0xbf5db3d7, v38
	;; [unrolled: 1-line block ×3, first 2 shown]
	v_add_f32_e32 v38, v27, v36
	v_add_f32_e32 v37, v54, v34
	v_fma_f32 v38, -0.5, v38, v88
	v_fma_f32 v37, -0.5, v37, v35
	v_sub_f32_e32 v67, v54, v34
	v_mov_b32_e32 v66, v38
	v_sub_f32_e32 v68, v27, v36
	v_mov_b32_e32 v65, v37
	v_fmac_f32_e32 v66, 0xbf5db3d7, v67
	v_fmac_f32_e32 v65, 0x3f5db3d7, v68
	;; [unrolled: 1-line block ×4, first 2 shown]
	ds_read2_b32 v[67:68], v5 offset0:98 offset1:149
	ds_read2_b32 v[86:87], v0 offset1:51
	v_add_f32_e32 v27, v88, v27
	v_add_f32_e32 v36, v27, v36
	;; [unrolled: 1-line block ×4, first 2 shown]
	v_mov_b32_e32 v61, v39
	s_waitcnt vmcnt(1)
	v_mul_f32_e32 v0, v33, v71
	v_mul_f32_e32 v5, v26, v73
	v_fma_f32 v0, v70, v89, -v0
	s_waitcnt lgkmcnt(1)
	v_fma_f32 v5, v72, v68, -v5
	v_add_f32_e32 v27, v0, v5
	v_mul_f32_e32 v54, v89, v71
	v_mul_f32_e32 v68, v68, v73
	s_waitcnt lgkmcnt(0)
	v_fma_f32 v27, -0.5, v27, v87
	v_fmac_f32_e32 v54, v33, v70
	v_fmac_f32_e32 v68, v26, v72
	v_sub_f32_e32 v69, v54, v68
	v_mov_b32_e32 v34, v27
	v_add_f32_e32 v26, v54, v68
	v_sub_f32_e32 v70, v0, v5
	v_add_f32_e32 v0, v87, v0
	v_fmac_f32_e32 v34, 0xbf5db3d7, v69
	v_fma_f32 v26, -0.5, v26, v24
	v_fmac_f32_e32 v27, 0x3f5db3d7, v69
	v_add_f32_e32 v69, v0, v5
	v_add_f32_e32 v0, v24, v54
	v_mov_b32_e32 v33, v26
	v_add_f32_e32 v68, v0, v68
	s_waitcnt vmcnt(0)
	v_mul_f32_e32 v0, v28, v75
	v_mul_f32_e32 v5, v25, v77
	v_fmac_f32_e32 v33, 0x3f5db3d7, v70
	v_fmac_f32_e32 v26, 0xbf5db3d7, v70
	v_fma_f32 v0, v74, v53, -v0
	v_fma_f32 v5, v76, v67, -v5
	v_mul_f32_e32 v70, v53, v75
	v_add_f32_e32 v24, v0, v5
	v_fmac_f32_e32 v70, v28, v74
	v_mul_f32_e32 v28, v67, v77
	v_fma_f32 v54, -0.5, v24, v86
	v_fmac_f32_e32 v28, v25, v76
	v_sub_f32_e32 v67, v70, v28
	v_mov_b32_e32 v25, v54
	v_fmac_f32_e32 v25, 0xbf5db3d7, v67
	v_add_f32_e32 v24, v70, v28
	v_fmac_f32_e32 v54, 0x3f5db3d7, v67
	v_mul_hi_u32 v67, v79, s1
	v_fma_f32 v53, -0.5, v24, v23
	v_sub_f32_e32 v71, v0, v5
	v_mov_b32_e32 v24, v53
	v_add_f32_e32 v0, v86, v0
	v_fmac_f32_e32 v24, 0x3f5db3d7, v71
	v_fmac_f32_e32 v53, 0xbf5db3d7, v71
	v_add_f32_e32 v71, v0, v5
	v_add_f32_e32 v0, v23, v70
	;; [unrolled: 1-line block ×3, first 2 shown]
	v_sub_u32_e32 v0, v79, v67
	v_lshrrev_b32_e32 v0, 1, v0
	v_add_u32_e32 v0, v0, v67
	v_lshrrev_b32_e32 v0, 9, v0
	v_mul_u32_u24_e32 v0, 0x231, v0
	v_sub_u32_e32 v5, v79, v0
	v_mov_b32_e32 v0, s11
	v_add_co_u32_e32 v23, vcc, s10, v43
	v_addc_co_u32_e32 v28, vcc, v0, v44, vcc
	v_lshlrev_b64 v[0:1], 3, v[1:2]
	v_fmac_f32_e32 v39, 0xbf5db3d7, v78
	v_add_co_u32_e32 v2, vcc, v23, v0
	v_addc_co_u32_e32 v23, vcc, v28, v1, vcc
	v_lshlrev_b32_e32 v0, 3, v5
	v_add_co_u32_e32 v0, vcc, v2, v0
	v_addc_co_u32_e32 v1, vcc, 0, v23, vcc
	v_add_u32_e32 v5, 51, v79
	v_add_co_u32_e32 v43, vcc, s0, v0
	v_mul_hi_u32 v28, v5, s1
	v_addc_co_u32_e32 v44, vcc, 0, v1, vcc
	s_movk_i32 s0, 0x2000
	global_store_dwordx2 v[0:1], v[70:71], off
	v_add_co_u32_e32 v0, vcc, s0, v0
	v_addc_co_u32_e32 v1, vcc, 0, v1, vcc
	global_store_dwordx2 v[0:1], v[24:25], off offset:784
	v_sub_u32_e32 v0, v5, v28
	v_lshrrev_b32_e32 v0, 1, v0
	v_add_u32_e32 v0, v0, v28
	v_lshrrev_b32_e32 v0, 9, v0
	v_mul_u32_u24_e32 v1, 0x231, v0
	v_sub_u32_e32 v1, v5, v1
	s_movk_i32 s0, 0x693
	v_mad_u32_u24 v5, v0, s0, v1
	v_lshlrev_b64 v[0:1], 3, v[5:6]
	global_store_dwordx2 v[43:44], v[53:54], off offset:392
	v_add_co_u32_e32 v0, vcc, v2, v0
	v_addc_co_u32_e32 v1, vcc, v23, v1, vcc
	global_store_dwordx2 v[0:1], v[68:69], off
	v_add_u32_e32 v0, 0x231, v5
	v_mov_b32_e32 v1, v6
	v_lshlrev_b64 v[0:1], 3, v[0:1]
	v_add_u32_e32 v5, 0x462, v5
	v_add_co_u32_e32 v0, vcc, v2, v0
	v_addc_co_u32_e32 v1, vcc, v23, v1, vcc
	global_store_dwordx2 v[0:1], v[26:27], off
	v_lshlrev_b64 v[0:1], 3, v[5:6]
	v_add_u32_e32 v5, 0x66, v79
	v_mul_hi_u32 v24, v5, s1
	v_add_co_u32_e32 v0, vcc, v2, v0
	v_addc_co_u32_e32 v1, vcc, v23, v1, vcc
	global_store_dwordx2 v[0:1], v[33:34], off
	v_sub_u32_e32 v0, v5, v24
	v_lshrrev_b32_e32 v0, 1, v0
	v_add_u32_e32 v0, v0, v24
	v_lshrrev_b32_e32 v0, 9, v0
	v_mul_u32_u24_e32 v1, 0x231, v0
	v_sub_u32_e32 v1, v5, v1
	v_mad_u32_u24 v5, v0, s0, v1
	v_lshlrev_b64 v[0:1], 3, v[5:6]
	v_fmac_f32_e32 v61, 0x3f5db3d7, v78
	v_add_co_u32_e32 v0, vcc, v2, v0
	v_addc_co_u32_e32 v1, vcc, v23, v1, vcc
	global_store_dwordx2 v[0:1], v[35:36], off
	v_add_u32_e32 v0, 0x231, v5
	v_mov_b32_e32 v1, v6
	v_lshlrev_b64 v[0:1], 3, v[0:1]
	v_add_u32_e32 v5, 0x462, v5
	v_add_co_u32_e32 v0, vcc, v2, v0
	v_addc_co_u32_e32 v1, vcc, v23, v1, vcc
	global_store_dwordx2 v[0:1], v[37:38], off
	v_lshlrev_b64 v[0:1], 3, v[5:6]
	v_add_u32_e32 v5, 0x99, v79
	v_mul_hi_u32 v24, v5, s1
	v_add_co_u32_e32 v0, vcc, v2, v0
	v_addc_co_u32_e32 v1, vcc, v23, v1, vcc
	global_store_dwordx2 v[0:1], v[65:66], off
	v_sub_u32_e32 v0, v5, v24
	v_lshrrev_b32_e32 v0, 1, v0
	v_add_u32_e32 v0, v0, v24
	v_lshrrev_b32_e32 v0, 9, v0
	v_mul_u32_u24_e32 v1, 0x231, v0
	v_sub_u32_e32 v1, v5, v1
	v_mad_u32_u24 v5, v0, s0, v1
	v_lshlrev_b64 v[0:1], 3, v[5:6]
	v_add_co_u32_e32 v0, vcc, v2, v0
	v_addc_co_u32_e32 v1, vcc, v23, v1, vcc
	global_store_dwordx2 v[0:1], v[63:64], off
	v_add_u32_e32 v0, 0x231, v5
	v_mov_b32_e32 v1, v6
	v_lshlrev_b64 v[0:1], 3, v[0:1]
	v_add_u32_e32 v5, 0x462, v5
	v_add_co_u32_e32 v0, vcc, v2, v0
	v_addc_co_u32_e32 v1, vcc, v23, v1, vcc
	global_store_dwordx2 v[0:1], v[39:40], off
	v_lshlrev_b64 v[0:1], 3, v[5:6]
	v_add_u32_e32 v5, 0xcc, v79
	v_mul_hi_u32 v24, v5, s1
	v_add_co_u32_e32 v0, vcc, v2, v0
	v_addc_co_u32_e32 v1, vcc, v23, v1, vcc
	global_store_dwordx2 v[0:1], v[61:62], off
	v_sub_u32_e32 v0, v5, v24
	v_lshrrev_b32_e32 v0, 1, v0
	v_add_u32_e32 v0, v0, v24
	v_lshrrev_b32_e32 v0, 9, v0
	v_mul_u32_u24_e32 v1, 0x231, v0
	v_sub_u32_e32 v1, v5, v1
	v_mad_u32_u24 v5, v0, s0, v1
	v_lshlrev_b64 v[0:1], 3, v[5:6]
	;; [unrolled: 24-line block ×8, first 2 shown]
	v_add_co_u32_e32 v0, vcc, v2, v0
	v_addc_co_u32_e32 v1, vcc, v23, v1, vcc
	global_store_dwordx2 v[0:1], v[9:10], off
	v_add_u32_e32 v0, 0x231, v5
	v_mov_b32_e32 v1, v6
	v_lshlrev_b64 v[0:1], 3, v[0:1]
	v_add_u32_e32 v5, 0x462, v5
	v_add_co_u32_e32 v0, vcc, v2, v0
	v_addc_co_u32_e32 v1, vcc, v23, v1, vcc
	global_store_dwordx2 v[0:1], v[7:8], off
	v_lshlrev_b64 v[0:1], 3, v[5:6]
	v_add_co_u32_e32 v0, vcc, v2, v0
	v_addc_co_u32_e32 v1, vcc, v23, v1, vcc
	global_store_dwordx2 v[0:1], v[3:4], off
.LBB0_21:
	s_endpgm
	.section	.rodata,"a",@progbits
	.p2align	6, 0x0
	.amdhsa_kernel fft_rtc_back_len1683_factors_17_3_11_3_wgs_51_tpt_51_halfLds_sp_op_CI_CI_unitstride_sbrr_dirReg
		.amdhsa_group_segment_fixed_size 0
		.amdhsa_private_segment_fixed_size 0
		.amdhsa_kernarg_size 104
		.amdhsa_user_sgpr_count 6
		.amdhsa_user_sgpr_private_segment_buffer 1
		.amdhsa_user_sgpr_dispatch_ptr 0
		.amdhsa_user_sgpr_queue_ptr 0
		.amdhsa_user_sgpr_kernarg_segment_ptr 1
		.amdhsa_user_sgpr_dispatch_id 0
		.amdhsa_user_sgpr_flat_scratch_init 0
		.amdhsa_user_sgpr_private_segment_size 0
		.amdhsa_uses_dynamic_stack 0
		.amdhsa_system_sgpr_private_segment_wavefront_offset 0
		.amdhsa_system_sgpr_workgroup_id_x 1
		.amdhsa_system_sgpr_workgroup_id_y 0
		.amdhsa_system_sgpr_workgroup_id_z 0
		.amdhsa_system_sgpr_workgroup_info 0
		.amdhsa_system_vgpr_workitem_id 0
		.amdhsa_next_free_vgpr 137
		.amdhsa_next_free_sgpr 28
		.amdhsa_reserve_vcc 1
		.amdhsa_reserve_flat_scratch 0
		.amdhsa_float_round_mode_32 0
		.amdhsa_float_round_mode_16_64 0
		.amdhsa_float_denorm_mode_32 3
		.amdhsa_float_denorm_mode_16_64 3
		.amdhsa_dx10_clamp 1
		.amdhsa_ieee_mode 1
		.amdhsa_fp16_overflow 0
		.amdhsa_exception_fp_ieee_invalid_op 0
		.amdhsa_exception_fp_denorm_src 0
		.amdhsa_exception_fp_ieee_div_zero 0
		.amdhsa_exception_fp_ieee_overflow 0
		.amdhsa_exception_fp_ieee_underflow 0
		.amdhsa_exception_fp_ieee_inexact 0
		.amdhsa_exception_int_div_zero 0
	.end_amdhsa_kernel
	.text
.Lfunc_end0:
	.size	fft_rtc_back_len1683_factors_17_3_11_3_wgs_51_tpt_51_halfLds_sp_op_CI_CI_unitstride_sbrr_dirReg, .Lfunc_end0-fft_rtc_back_len1683_factors_17_3_11_3_wgs_51_tpt_51_halfLds_sp_op_CI_CI_unitstride_sbrr_dirReg
                                        ; -- End function
	.section	.AMDGPU.csdata,"",@progbits
; Kernel info:
; codeLenInByte = 25456
; NumSgprs: 32
; NumVgprs: 137
; ScratchSize: 0
; MemoryBound: 0
; FloatMode: 240
; IeeeMode: 1
; LDSByteSize: 0 bytes/workgroup (compile time only)
; SGPRBlocks: 3
; VGPRBlocks: 34
; NumSGPRsForWavesPerEU: 32
; NumVGPRsForWavesPerEU: 137
; Occupancy: 1
; WaveLimiterHint : 1
; COMPUTE_PGM_RSRC2:SCRATCH_EN: 0
; COMPUTE_PGM_RSRC2:USER_SGPR: 6
; COMPUTE_PGM_RSRC2:TRAP_HANDLER: 0
; COMPUTE_PGM_RSRC2:TGID_X_EN: 1
; COMPUTE_PGM_RSRC2:TGID_Y_EN: 0
; COMPUTE_PGM_RSRC2:TGID_Z_EN: 0
; COMPUTE_PGM_RSRC2:TIDIG_COMP_CNT: 0
	.type	__hip_cuid_2aaf477d56797b3,@object ; @__hip_cuid_2aaf477d56797b3
	.section	.bss,"aw",@nobits
	.globl	__hip_cuid_2aaf477d56797b3
__hip_cuid_2aaf477d56797b3:
	.byte	0                               ; 0x0
	.size	__hip_cuid_2aaf477d56797b3, 1

	.ident	"AMD clang version 19.0.0git (https://github.com/RadeonOpenCompute/llvm-project roc-6.4.0 25133 c7fe45cf4b819c5991fe208aaa96edf142730f1d)"
	.section	".note.GNU-stack","",@progbits
	.addrsig
	.addrsig_sym __hip_cuid_2aaf477d56797b3
	.amdgpu_metadata
---
amdhsa.kernels:
  - .args:
      - .actual_access:  read_only
        .address_space:  global
        .offset:         0
        .size:           8
        .value_kind:     global_buffer
      - .offset:         8
        .size:           8
        .value_kind:     by_value
      - .actual_access:  read_only
        .address_space:  global
        .offset:         16
        .size:           8
        .value_kind:     global_buffer
      - .actual_access:  read_only
        .address_space:  global
        .offset:         24
        .size:           8
        .value_kind:     global_buffer
      - .actual_access:  read_only
        .address_space:  global
        .offset:         32
        .size:           8
        .value_kind:     global_buffer
      - .offset:         40
        .size:           8
        .value_kind:     by_value
      - .actual_access:  read_only
        .address_space:  global
        .offset:         48
        .size:           8
        .value_kind:     global_buffer
      - .actual_access:  read_only
        .address_space:  global
        .offset:         56
        .size:           8
        .value_kind:     global_buffer
      - .offset:         64
        .size:           4
        .value_kind:     by_value
      - .actual_access:  read_only
        .address_space:  global
        .offset:         72
        .size:           8
        .value_kind:     global_buffer
      - .actual_access:  read_only
        .address_space:  global
        .offset:         80
        .size:           8
        .value_kind:     global_buffer
      - .actual_access:  read_only
        .address_space:  global
        .offset:         88
        .size:           8
        .value_kind:     global_buffer
      - .actual_access:  write_only
        .address_space:  global
        .offset:         96
        .size:           8
        .value_kind:     global_buffer
    .group_segment_fixed_size: 0
    .kernarg_segment_align: 8
    .kernarg_segment_size: 104
    .language:       OpenCL C
    .language_version:
      - 2
      - 0
    .max_flat_workgroup_size: 51
    .name:           fft_rtc_back_len1683_factors_17_3_11_3_wgs_51_tpt_51_halfLds_sp_op_CI_CI_unitstride_sbrr_dirReg
    .private_segment_fixed_size: 0
    .sgpr_count:     32
    .sgpr_spill_count: 0
    .symbol:         fft_rtc_back_len1683_factors_17_3_11_3_wgs_51_tpt_51_halfLds_sp_op_CI_CI_unitstride_sbrr_dirReg.kd
    .uniform_work_group_size: 1
    .uses_dynamic_stack: false
    .vgpr_count:     137
    .vgpr_spill_count: 0
    .wavefront_size: 64
amdhsa.target:   amdgcn-amd-amdhsa--gfx906
amdhsa.version:
  - 1
  - 2
...

	.end_amdgpu_metadata
